;; amdgpu-corpus repo=ROCm/rocFFT kind=compiled arch=gfx906 opt=O3
	.text
	.amdgcn_target "amdgcn-amd-amdhsa--gfx906"
	.amdhsa_code_object_version 6
	.protected	fft_rtc_back_len224_factors_2_4_4_7_wgs_252_tpt_14_dim2_sp_ip_CI_sbcc_twdbase8_2step_dirReg ; -- Begin function fft_rtc_back_len224_factors_2_4_4_7_wgs_252_tpt_14_dim2_sp_ip_CI_sbcc_twdbase8_2step_dirReg
	.globl	fft_rtc_back_len224_factors_2_4_4_7_wgs_252_tpt_14_dim2_sp_ip_CI_sbcc_twdbase8_2step_dirReg
	.p2align	8
	.type	fft_rtc_back_len224_factors_2_4_4_7_wgs_252_tpt_14_dim2_sp_ip_CI_sbcc_twdbase8_2step_dirReg,@function
fft_rtc_back_len224_factors_2_4_4_7_wgs_252_tpt_14_dim2_sp_ip_CI_sbcc_twdbase8_2step_dirReg: ; @fft_rtc_back_len224_factors_2_4_4_7_wgs_252_tpt_14_dim2_sp_ip_CI_sbcc_twdbase8_2step_dirReg
; %bb.0:
	s_load_dwordx4 s[0:3], s[4:5], 0x10
	s_mov_b32 s7, 0
	s_mov_b64 s[20:21], -1
	s_waitcnt lgkmcnt(0)
	s_load_dwordx2 s[16:17], s[0:1], 0x8
	s_load_dwordx2 s[14:15], s[4:5], 0x50
	;; [unrolled: 1-line block ×3, first 2 shown]
	s_waitcnt lgkmcnt(0)
	s_add_u32 s0, s16, -1
	s_addc_u32 s1, s17, -1
	s_add_u32 s8, 0, 0x38e27e00
	s_addc_u32 s9, 0, 62
	s_add_i32 s9, s9, 0xe38e350
	s_mul_hi_u32 s19, s8, 0xffffffee
	s_sub_i32 s19, s19, s8
	s_mul_i32 s22, s9, 0xffffffee
	s_mul_i32 s10, s8, 0xffffffee
	s_add_i32 s19, s19, s22
	s_mul_hi_u32 s11, s9, s10
	s_mul_i32 s18, s9, s10
	s_mul_i32 s23, s8, s19
	s_mul_hi_u32 s10, s8, s10
	s_mul_hi_u32 s22, s8, s19
	s_add_u32 s10, s10, s23
	s_addc_u32 s22, 0, s22
	s_add_u32 s10, s10, s18
	s_mul_hi_u32 s23, s9, s19
	s_addc_u32 s10, s22, s11
	s_addc_u32 s11, s23, 0
	s_mul_i32 s18, s9, s19
	s_add_u32 s10, s10, s18
	v_mov_b32_e32 v1, s10
	s_addc_u32 s11, 0, s11
	v_add_co_u32_e32 v1, vcc, s8, v1
	s_cmp_lg_u64 vcc, 0
	s_addc_u32 s8, s9, s11
	v_readfirstlane_b32 s11, v1
	s_mul_i32 s10, s0, s8
	s_mul_hi_u32 s18, s0, s11
	s_mul_hi_u32 s9, s0, s8
	s_add_u32 s10, s18, s10
	s_addc_u32 s9, 0, s9
	s_mul_hi_u32 s19, s1, s11
	s_mul_i32 s11, s1, s11
	s_add_u32 s10, s10, s11
	s_mul_hi_u32 s18, s1, s8
	s_addc_u32 s9, s9, s19
	s_addc_u32 s10, s18, 0
	s_mul_i32 s8, s1, s8
	s_add_u32 s8, s9, s8
	s_addc_u32 s9, 0, s10
	s_add_u32 s10, s8, 1
	s_addc_u32 s11, s9, 0
	s_add_u32 s18, s8, 2
	s_mul_i32 s22, s9, 18
	s_mul_hi_u32 s23, s8, 18
	s_addc_u32 s19, s9, 0
	s_add_i32 s23, s23, s22
	s_mul_i32 s22, s8, 18
	v_mov_b32_e32 v1, s22
	v_sub_co_u32_e32 v1, vcc, s0, v1
	s_cmp_lg_u64 vcc, 0
	s_subb_u32 s0, s1, s23
	v_subrev_co_u32_e32 v2, vcc, 18, v1
	s_cmp_lg_u64 vcc, 0
	s_subb_u32 s1, s0, 0
	v_readfirstlane_b32 s22, v2
	s_cmp_gt_u32 s22, 17
	s_cselect_b32 s22, -1, 0
	s_cmp_eq_u32 s1, 0
	s_cselect_b32 s1, s22, -1
	s_cmp_lg_u32 s1, 0
	s_cselect_b32 s1, s18, s10
	s_cselect_b32 s10, s19, s11
	v_readfirstlane_b32 s11, v1
	s_cmp_gt_u32 s11, 17
	s_cselect_b32 s11, -1, 0
	s_cmp_eq_u32 s0, 0
	s_cselect_b32 s0, s11, -1
	s_cmp_lg_u32 s0, 0
	s_cselect_b32 s0, s1, s8
	s_cselect_b32 s9, s10, s9
	s_add_u32 s0, s0, 1
	s_addc_u32 s1, s9, 0
	v_mov_b32_e32 v2, s1
	v_mov_b32_e32 v1, s0
	v_cmp_lt_u64_e32 vcc, s[6:7], v[1:2]
	s_mov_b64 s[22:23], 0
	s_cbranch_vccnz .LBB0_2
; %bb.1:
	v_cvt_f32_u32_e32 v1, s0
	s_sub_i32 s7, 0, s0
	v_rcp_iflag_f32_e32 v1, v1
	v_mul_f32_e32 v1, 0x4f7ffffe, v1
	v_cvt_u32_f32_e32 v1, v1
	v_readfirstlane_b32 s8, v1
	s_mul_i32 s7, s7, s8
	s_mul_hi_u32 s7, s8, s7
	s_add_i32 s8, s8, s7
	s_mul_hi_u32 s7, s6, s8
	s_mul_i32 s9, s7, s0
	s_sub_i32 s9, s6, s9
	s_add_i32 s8, s7, 1
	s_sub_i32 s10, s9, s0
	s_cmp_ge_u32 s9, s0
	s_cselect_b32 s7, s8, s7
	s_cselect_b32 s9, s10, s9
	s_add_i32 s8, s7, 1
	s_cmp_ge_u32 s9, s0
	s_cselect_b32 s22, s8, s7
.LBB0_2:
	s_mul_i32 s1, s22, s1
	s_mul_hi_u32 s7, s22, s0
	s_load_dwordx4 s[8:11], s[2:3], 0x8
	s_add_i32 s7, s7, s1
	s_mul_i32 s0, s22, s0
	s_sub_u32 s0, s6, s0
	s_subb_u32 s1, 0, s7
	s_mul_i32 s1, s1, 18
	s_mul_hi_u32 s2, s0, 18
	s_mul_i32 s0, s0, 18
	s_add_i32 s1, s2, s1
	s_waitcnt lgkmcnt(0)
	s_mul_i32 s3, s0, s9
	s_mul_hi_u32 s6, s0, s8
	v_mul_u32_u24_e32 v1, 0xe39, v0
	s_mul_i32 s2, s1, s8
	s_add_i32 s3, s6, s3
	s_mul_i32 s6, s11, s22
	s_mul_hi_u32 s7, s10, s22
	v_lshrrev_b32_e32 v88, 16, v1
	s_add_i32 s3, s3, s2
	s_mul_i32 s2, s0, s8
	s_add_i32 s7, s7, s6
	s_mul_i32 s6, s10, s22
	v_mul_lo_u16_e32 v1, 18, v88
	s_add_u32 s6, s6, s2
	v_sub_u16_e32 v89, v0, v1
	s_addc_u32 s7, s7, s3
	v_mov_b32_e32 v1, s1
	v_add_co_u32_e32 v37, vcc, s0, v89
	s_load_dwordx2 s[18:19], s[4:5], 0x0
	v_addc_co_u32_e32 v38, vcc, 0, v1, vcc
	s_add_u32 s0, s0, 18
	v_mov_b32_e32 v1, s16
	s_addc_u32 s1, s1, 0
	v_mov_b32_e32 v2, s17
	v_cmp_gt_u64_e32 vcc, s[0:1], v[1:2]
	v_cmp_le_u64_e64 s[0:1], s[0:1], v[1:2]
	s_and_b64 vcc, exec, vcc
	v_add_u32_e32 v34, 14, v88
	v_add_u32_e32 v35, 28, v88
	;; [unrolled: 1-line block ×4, first 2 shown]
	s_cbranch_vccnz .LBB0_4
; %bb.3:
	v_mad_u64_u32 v[1:2], s[2:3], s8, v89, 0
	v_mad_u64_u32 v[3:4], s[2:3], s12, v88, 0
	v_or_b32_e32 v8, 0x70, v88
	v_add_u32_e32 v39, 14, v88
	v_mad_u64_u32 v[5:6], s[2:3], s9, v89, v[2:3]
	v_mov_b32_e32 v2, v4
	v_mad_u64_u32 v[6:7], s[2:3], s13, v88, v[2:3]
	s_lshl_b64 s[2:3], s[6:7], 3
	s_add_u32 s10, s14, s2
	s_addc_u32 s2, s15, s3
	v_mov_b32_e32 v2, v5
	v_mov_b32_e32 v4, v6
	v_mov_b32_e32 v7, s2
	v_mad_u64_u32 v[5:6], s[2:3], s12, v8, 0
	v_lshlrev_b64 v[1:2], 3, v[1:2]
	v_add_u32_e32 v90, 28, v88
	v_add_co_u32_e32 v9, vcc, s10, v1
	v_addc_co_u32_e32 v10, vcc, v7, v2, vcc
	v_lshlrev_b64 v[1:2], 3, v[3:4]
	v_mov_b32_e32 v3, v6
	v_mad_u64_u32 v[3:4], s[2:3], s13, v8, v[3:4]
	v_mad_u64_u32 v[7:8], s[2:3], s12, v39, 0
	v_add_co_u32_e32 v31, vcc, v9, v1
	v_mov_b32_e32 v6, v3
	v_mov_b32_e32 v3, v8
	v_addc_co_u32_e32 v32, vcc, v10, v2, vcc
	v_lshlrev_b64 v[1:2], 3, v[5:6]
	v_mad_u64_u32 v[3:4], s[2:3], s13, v39, v[3:4]
	v_add_u32_e32 v6, 0x7e, v88
	v_mad_u64_u32 v[4:5], s[2:3], s12, v6, 0
	v_mov_b32_e32 v8, v3
	v_add_co_u32_e32 v42, vcc, v9, v1
	v_mov_b32_e32 v3, v5
	v_mad_u64_u32 v[5:6], s[2:3], s13, v6, v[3:4]
	v_addc_co_u32_e32 v43, vcc, v10, v2, vcc
	v_lshlrev_b64 v[1:2], 3, v[7:8]
	v_mad_u64_u32 v[6:7], s[2:3], s12, v90, 0
	v_add_co_u32_e32 v44, vcc, v9, v1
	v_mov_b32_e32 v3, v7
	v_addc_co_u32_e32 v45, vcc, v10, v2, vcc
	v_lshlrev_b64 v[1:2], 3, v[4:5]
	v_mad_u64_u32 v[3:4], s[2:3], s13, v90, v[3:4]
	v_add_u32_e32 v8, 0x8c, v88
	v_mad_u64_u32 v[4:5], s[2:3], s12, v8, 0
	v_add_co_u32_e32 v46, vcc, v9, v1
	v_mov_b32_e32 v7, v3
	v_mov_b32_e32 v3, v5
	v_addc_co_u32_e32 v47, vcc, v10, v2, vcc
	v_lshlrev_b64 v[1:2], 3, v[6:7]
	v_mad_u64_u32 v[5:6], s[2:3], s13, v8, v[3:4]
	v_add_u32_e32 v33, 42, v88
	v_mad_u64_u32 v[6:7], s[2:3], s12, v33, 0
	v_add_co_u32_e32 v48, vcc, v9, v1
	v_mov_b32_e32 v3, v7
	v_addc_co_u32_e32 v49, vcc, v10, v2, vcc
	v_lshlrev_b64 v[1:2], 3, v[4:5]
	v_mad_u64_u32 v[3:4], s[2:3], s13, v33, v[3:4]
	v_add_u32_e32 v8, 0x9a, v88
	v_mad_u64_u32 v[4:5], s[2:3], s12, v8, 0
	v_add_co_u32_e32 v50, vcc, v9, v1
	v_mov_b32_e32 v7, v3
	v_mov_b32_e32 v3, v5
	v_addc_co_u32_e32 v51, vcc, v10, v2, vcc
	v_lshlrev_b64 v[1:2], 3, v[6:7]
	v_mad_u64_u32 v[5:6], s[2:3], s13, v8, v[3:4]
	v_add_u32_e32 v41, 56, v88
	;; [unrolled: 15-line block ×5, first 2 shown]
	v_mad_u64_u32 v[6:7], s[2:3], s12, v8, 0
	v_add_co_u32_e32 v64, vcc, v9, v1
	v_mov_b32_e32 v3, v7
	v_addc_co_u32_e32 v65, vcc, v10, v2, vcc
	v_lshlrev_b64 v[1:2], 3, v[4:5]
	v_mad_u64_u32 v[3:4], s[2:3], s13, v8, v[3:4]
	v_add_u32_e32 v8, 0xd2, v88
	v_mad_u64_u32 v[4:5], s[2:3], s12, v8, 0
	v_add_co_u32_e32 v66, vcc, v9, v1
	v_mov_b32_e32 v7, v3
	v_mov_b32_e32 v3, v5
	v_addc_co_u32_e32 v67, vcc, v10, v2, vcc
	v_lshlrev_b64 v[1:2], 3, v[6:7]
	v_mad_u64_u32 v[5:6], s[2:3], s13, v8, v[3:4]
	v_add_co_u32_e32 v68, vcc, v9, v1
	v_addc_co_u32_e32 v69, vcc, v10, v2, vcc
	v_lshlrev_b64 v[1:2], 3, v[4:5]
	v_add_co_u32_e32 v70, vcc, v9, v1
	v_addc_co_u32_e32 v71, vcc, v10, v2, vcc
	global_load_dwordx2 v[5:6], v[31:32], off
	global_load_dwordx2 v[7:8], v[42:43], off
	;; [unrolled: 1-line block ×15, first 2 shown]
                                        ; kill: killed $vgpr48 killed $vgpr49
                                        ; kill: killed $vgpr42 killed $vgpr43
                                        ; kill: killed $vgpr68 killed $vgpr69
                                        ; kill: killed $vgpr58 killed $vgpr59
                                        ; kill: killed $vgpr44 killed $vgpr45
                                        ; kill: killed $vgpr62 killed $vgpr63
                                        ; kill: killed $vgpr54 killed $vgpr55
                                        ; kill: killed $vgpr31 killed $vgpr32
                                        ; kill: killed $vgpr66 killed $vgpr67
                                        ; kill: killed $vgpr56 killed $vgpr57
                                        ; kill: killed $vgpr50 killed $vgpr51
                                        ; kill: killed $vgpr60 killed $vgpr61
                                        ; kill: killed $vgpr52 killed $vgpr53
                                        ; kill: killed $vgpr46 killed $vgpr47
                                        ; kill: killed $vgpr64 killed $vgpr65
	global_load_dwordx2 v[31:32], v[70:71], off
	s_cbranch_execz .LBB0_5
	s_branch .LBB0_10
.LBB0_4:
                                        ; implicit-def: $vgpr1
                                        ; implicit-def: $vgpr31
                                        ; implicit-def: $vgpr25
                                        ; implicit-def: $vgpr29
                                        ; implicit-def: $vgpr27
                                        ; implicit-def: $vgpr19
                                        ; implicit-def: $vgpr17
                                        ; implicit-def: $vgpr23
                                        ; implicit-def: $vgpr21
                                        ; implicit-def: $vgpr90
                                        ; implicit-def: $vgpr33
                                        ; implicit-def: $vgpr41
                                        ; implicit-def: $vgpr11
                                        ; implicit-def: $vgpr9
                                        ; implicit-def: $vgpr15
                                        ; implicit-def: $vgpr13
                                        ; implicit-def: $vgpr3
                                        ; implicit-def: $vgpr7
                                        ; implicit-def: $vgpr5
                                        ; implicit-def: $vgpr39
	s_andn2_b64 vcc, exec, s[20:21]
	s_cbranch_vccnz .LBB0_10
.LBB0_5:
	v_cmp_le_u64_e32 vcc, s[16:17], v[37:38]
                                        ; implicit-def: $vgpr39
                                        ; implicit-def: $vgpr90
                                        ; implicit-def: $vgpr33
                                        ; implicit-def: $vgpr41
	s_and_saveexec_b64 s[2:3], vcc
	s_xor_b64 s[2:3], exec, s[2:3]
; %bb.6:
	v_add_u32_e32 v39, 14, v88
	v_add_u32_e32 v90, 28, v88
	;; [unrolled: 1-line block ×4, first 2 shown]
                                        ; implicit-def: $vgpr34
                                        ; implicit-def: $vgpr35
                                        ; implicit-def: $vgpr36
                                        ; implicit-def: $vgpr40
; %bb.7:
	s_or_saveexec_b64 s[2:3], s[2:3]
                                        ; implicit-def: $vgpr1
                                        ; implicit-def: $vgpr31
                                        ; implicit-def: $vgpr25
                                        ; implicit-def: $vgpr29
                                        ; implicit-def: $vgpr27
                                        ; implicit-def: $vgpr19
                                        ; implicit-def: $vgpr17
                                        ; implicit-def: $vgpr23
                                        ; implicit-def: $vgpr21
                                        ; implicit-def: $vgpr11
                                        ; implicit-def: $vgpr9
                                        ; implicit-def: $vgpr15
                                        ; implicit-def: $vgpr13
                                        ; implicit-def: $vgpr3
                                        ; implicit-def: $vgpr7
                                        ; implicit-def: $vgpr5
	s_xor_b64 exec, exec, s[2:3]
	s_cbranch_execz .LBB0_9
; %bb.8:
	s_waitcnt vmcnt(12)
	v_mad_u64_u32 v[1:2], s[10:11], s8, v89, 0
	v_mad_u64_u32 v[3:4], s[10:11], s12, v88, 0
	v_or_b32_e32 v8, 0x70, v88
	s_waitcnt vmcnt(7)
	v_add_u32_e32 v22, 0x8c, v88
	v_mad_u64_u32 v[5:6], s[10:11], s9, v89, v[2:3]
	v_mov_b32_e32 v2, v4
	v_mad_u64_u32 v[6:7], s[10:11], s13, v88, v[2:3]
	s_lshl_b64 s[10:11], s[6:7], 3
	s_add_u32 s20, s14, s10
	s_addc_u32 s10, s15, s11
	v_mov_b32_e32 v2, v5
	v_mov_b32_e32 v4, v6
	;; [unrolled: 1-line block ×3, first 2 shown]
	v_mad_u64_u32 v[5:6], s[10:11], s12, v8, 0
	v_lshlrev_b64 v[1:2], 3, v[1:2]
	v_mad_u64_u32 v[15:16], s[10:11], s12, v35, 0
	v_add_co_u32_e32 v39, vcc, s20, v1
	v_addc_co_u32_e32 v48, vcc, v7, v2, vcc
	v_lshlrev_b64 v[1:2], 3, v[3:4]
	v_mov_b32_e32 v3, v6
	v_mad_u64_u32 v[3:4], s[10:11], s13, v8, v[3:4]
	v_mad_u64_u32 v[7:8], s[10:11], s12, v34, 0
	v_add_co_u32_e32 v9, vcc, v39, v1
	v_mov_b32_e32 v6, v3
	v_mov_b32_e32 v3, v8
	v_addc_co_u32_e32 v10, vcc, v48, v2, vcc
	v_lshlrev_b64 v[1:2], 3, v[5:6]
	v_mad_u64_u32 v[3:4], s[10:11], s13, v34, v[3:4]
	v_add_u32_e32 v6, 0x7e, v88
	v_mad_u64_u32 v[4:5], s[10:11], s12, v6, 0
	v_mov_b32_e32 v8, v3
	v_add_co_u32_e32 v11, vcc, v39, v1
	v_mov_b32_e32 v3, v5
	v_mad_u64_u32 v[5:6], s[10:11], s13, v6, v[3:4]
	v_addc_co_u32_e32 v12, vcc, v48, v2, vcc
	v_lshlrev_b64 v[1:2], 3, v[7:8]
	s_waitcnt vmcnt(6)
	v_mad_u64_u32 v[23:24], s[10:11], s12, v40, 0
	v_add_co_u32_e32 v13, vcc, v39, v1
	v_addc_co_u32_e32 v14, vcc, v48, v2, vcc
	v_lshlrev_b64 v[1:2], 3, v[4:5]
	s_waitcnt vmcnt(2)
	v_add_u32_e32 v30, 0xa8, v88
	v_add_co_u32_e32 v17, vcc, v39, v1
	v_mov_b32_e32 v1, v16
	v_mad_u64_u32 v[19:20], s[10:11], s13, v35, v[1:2]
	v_mad_u64_u32 v[20:21], s[10:11], s12, v22, 0
	v_addc_co_u32_e32 v18, vcc, v48, v2, vcc
	global_load_dwordx2 v[5:6], v[9:10], off
	global_load_dwordx2 v[7:8], v[11:12], off
	;; [unrolled: 1-line block ×4, first 2 shown]
	v_mov_b32_e32 v11, v21
	v_mad_u64_u32 v[11:12], s[10:11], s13, v22, v[11:12]
	v_mad_u64_u32 v[12:13], s[10:11], s12, v36, 0
	v_mov_b32_e32 v16, v19
	v_mov_b32_e32 v21, v11
	;; [unrolled: 1-line block ×3, first 2 shown]
	v_lshlrev_b64 v[9:10], 3, v[15:16]
	v_mad_u64_u32 v[13:14], s[10:11], s13, v36, v[11:12]
	v_add_u32_e32 v16, 0x9a, v88
	v_mad_u64_u32 v[14:15], s[10:11], s12, v16, 0
	v_add_co_u32_e32 v17, vcc, v39, v9
	v_addc_co_u32_e32 v18, vcc, v48, v10, vcc
	v_lshlrev_b64 v[9:10], 3, v[20:21]
	v_mov_b32_e32 v11, v15
	v_add_co_u32_e32 v19, vcc, v39, v9
	v_addc_co_u32_e32 v20, vcc, v48, v10, vcc
	v_lshlrev_b64 v[9:10], 3, v[12:13]
	v_mad_u64_u32 v[11:12], s[10:11], s13, v16, v[11:12]
	v_add_co_u32_e32 v21, vcc, v39, v9
	v_mov_b32_e32 v15, v11
	v_addc_co_u32_e32 v22, vcc, v48, v10, vcc
	v_lshlrev_b64 v[9:10], 3, v[14:15]
	v_mov_b32_e32 v90, v35
	s_waitcnt vmcnt(5)
	v_add_co_u32_e32 v25, vcc, v39, v9
	v_mov_b32_e32 v9, v24
	v_mad_u64_u32 v[27:28], s[10:11], s13, v40, v[9:10]
	v_mad_u64_u32 v[28:29], s[10:11], s12, v30, 0
	v_addc_co_u32_e32 v26, vcc, v48, v10, vcc
	global_load_dwordx2 v[13:14], v[17:18], off
	global_load_dwordx2 v[15:16], v[19:20], off
	;; [unrolled: 1-line block ×4, first 2 shown]
	v_mov_b32_e32 v19, v29
	v_mad_u64_u32 v[19:20], s[10:11], s13, v30, v[19:20]
	v_add_u32_e32 v22, 0x46, v88
	v_mad_u64_u32 v[20:21], s[10:11], s12, v22, 0
	v_mov_b32_e32 v24, v27
	v_mov_b32_e32 v29, v19
	;; [unrolled: 1-line block ×3, first 2 shown]
	v_lshlrev_b64 v[17:18], 3, v[23:24]
	v_mad_u64_u32 v[21:22], s[10:11], s13, v22, v[19:20]
	v_add_u32_e32 v24, 0xb6, v88
	v_mad_u64_u32 v[22:23], s[10:11], s12, v24, 0
	v_add_co_u32_e32 v25, vcc, v39, v17
	v_addc_co_u32_e32 v26, vcc, v48, v18, vcc
	v_lshlrev_b64 v[17:18], 3, v[28:29]
	v_mov_b32_e32 v19, v23
	v_add_co_u32_e32 v27, vcc, v39, v17
	v_addc_co_u32_e32 v28, vcc, v48, v18, vcc
	v_lshlrev_b64 v[17:18], 3, v[20:21]
	v_mad_u64_u32 v[19:20], s[10:11], s13, v24, v[19:20]
	v_add_co_u32_e32 v29, vcc, v39, v17
	v_mov_b32_e32 v23, v19
	v_add_u32_e32 v19, 0x54, v88
	s_waitcnt vmcnt(8)
	v_mad_u64_u32 v[31:32], s[10:11], s12, v19, 0
	v_addc_co_u32_e32 v30, vcc, v48, v18, vcc
	v_lshlrev_b64 v[17:18], 3, v[22:23]
	v_add_co_u32_e32 v41, vcc, v39, v17
	v_mov_b32_e32 v17, v32
	v_mad_u64_u32 v[32:33], s[10:11], s13, v19, v[17:18]
	v_add_u32_e32 v33, 0xc4, v88
	v_mad_u64_u32 v[43:44], s[10:11], s12, v33, 0
	v_addc_co_u32_e32 v42, vcc, v48, v18, vcc
	global_load_dwordx2 v[21:22], v[25:26], off
	global_load_dwordx2 v[23:24], v[27:28], off
	;; [unrolled: 1-line block ×4, first 2 shown]
	v_mov_b32_e32 v27, v44
	v_mad_u64_u32 v[27:28], s[10:11], s13, v33, v[27:28]
	v_add_u32_e32 v30, 0x62, v88
	v_mad_u64_u32 v[28:29], s[10:11], s12, v30, 0
	v_mov_b32_e32 v44, v27
	v_lshlrev_b64 v[25:26], 3, v[31:32]
	v_mov_b32_e32 v27, v29
	v_mad_u64_u32 v[29:30], s[10:11], s13, v30, v[27:28]
	v_add_u32_e32 v32, 0xd2, v88
	v_mad_u64_u32 v[30:31], s[10:11], s12, v32, 0
	v_add_co_u32_e32 v41, vcc, v39, v25
	v_addc_co_u32_e32 v42, vcc, v48, v26, vcc
	v_lshlrev_b64 v[25:26], 3, v[43:44]
	v_mov_b32_e32 v27, v31
	v_add_co_u32_e32 v43, vcc, v39, v25
	v_addc_co_u32_e32 v44, vcc, v48, v26, vcc
	v_lshlrev_b64 v[25:26], 3, v[28:29]
	v_mad_u64_u32 v[27:28], s[10:11], s13, v32, v[27:28]
	v_add_co_u32_e32 v45, vcc, v39, v25
	v_mov_b32_e32 v31, v27
	v_addc_co_u32_e32 v46, vcc, v48, v26, vcc
	v_lshlrev_b64 v[25:26], 3, v[30:31]
	v_mov_b32_e32 v33, v36
	v_add_co_u32_e32 v47, vcc, v39, v25
	v_addc_co_u32_e32 v48, vcc, v48, v26, vcc
	global_load_dwordx2 v[27:28], v[41:42], off
	global_load_dwordx2 v[29:30], v[43:44], off
	;; [unrolled: 1-line block ×4, first 2 shown]
	v_mov_b32_e32 v39, v34
	v_mov_b32_e32 v41, v40
.LBB0_9:
	s_or_b64 exec, exec, s[2:3]
.LBB0_10:
	s_waitcnt vmcnt(12)
	v_sub_f32_e32 v1, v3, v1
	v_sub_f32_e32 v2, v4, v2
	;; [unrolled: 1-line block ×4, first 2 shown]
	v_fma_f32 v34, v3, 2.0, -v1
	v_fma_f32 v35, v4, 2.0, -v2
	v_mul_u32_u24_e32 v4, 0x120, v88
	v_lshlrev_b32_e32 v3, 3, v89
	v_fma_f32 v5, v5, 2.0, -v7
	v_fma_f32 v6, v6, 2.0, -v8
	v_add3_u32 v4, 0, v4, v3
	ds_write2_b64 v4, v[5:6], v[7:8] offset1:18
	v_mul_i32_i24_e32 v5, 0x120, v39
	v_add3_u32 v5, 0, v5, v3
	s_waitcnt vmcnt(10)
	v_sub_f32_e32 v15, v13, v15
	v_sub_f32_e32 v16, v14, v16
	ds_write2_b64 v5, v[34:35], v[1:2] offset1:18
	v_mul_i32_i24_e32 v1, 0x120, v90
	v_fma_f32 v13, v13, 2.0, -v15
	v_fma_f32 v14, v14, 2.0, -v16
	v_add3_u32 v1, 0, v1, v3
	s_waitcnt vmcnt(8)
	v_sub_f32_e32 v11, v9, v11
	v_sub_f32_e32 v12, v10, v12
	ds_write2_b64 v1, v[13:14], v[15:16] offset1:18
	v_mul_i32_i24_e32 v1, 0x120, v33
	v_fma_f32 v9, v9, 2.0, -v11
	v_fma_f32 v10, v10, 2.0, -v12
	v_add3_u32 v1, 0, v1, v3
	s_waitcnt vmcnt(6)
	v_sub_f32_e32 v23, v21, v23
	v_sub_f32_e32 v24, v22, v24
	s_waitcnt vmcnt(4)
	v_sub_f32_e32 v19, v17, v19
	v_sub_f32_e32 v20, v18, v20
	ds_write2_b64 v1, v[9:10], v[11:12] offset1:18
	v_mul_i32_i24_e32 v1, 0x120, v41
	v_fma_f32 v21, v21, 2.0, -v23
	v_fma_f32 v22, v22, 2.0, -v24
	;; [unrolled: 1-line block ×4, first 2 shown]
	s_waitcnt vmcnt(2)
	v_sub_f32_e32 v29, v27, v29
	v_sub_f32_e32 v30, v28, v30
	v_add3_u32 v5, 0, v1, v3
	v_add_u32_e32 v1, 0x4800, v4
	v_fma_f32 v27, v27, 2.0, -v29
	v_fma_f32 v28, v28, 2.0, -v30
	s_waitcnt vmcnt(0)
	v_sub_f32_e32 v31, v25, v31
	v_sub_f32_e32 v32, v26, v32
	ds_write2_b64 v5, v[21:22], v[23:24] offset1:18
	ds_write2_b64 v1, v[17:18], v[19:20] offset0:216 offset1:234
	v_add_u32_e32 v1, 0x5800, v4
	v_fma_f32 v25, v25, 2.0, -v31
	v_fma_f32 v26, v26, 2.0, -v32
	ds_write2_b64 v1, v[27:28], v[29:30] offset0:208 offset1:226
	v_add_u32_e32 v1, 0x6800, v4
	ds_write2_b64 v1, v[25:26], v[31:32] offset0:200 offset1:218
	v_and_b32_e32 v32, 1, v88
	v_mul_u32_u24_e32 v1, 3, v32
	v_lshlrev_b32_e32 v4, 3, v1
	s_waitcnt lgkmcnt(0)
	s_barrier
	global_load_dwordx4 v[8:11], v4, s[18:19]
	global_load_dwordx2 v[1:2], v4, s[18:19] offset:16
	v_mul_u32_u24_e32 v4, 0x90, v88
	v_add3_u32 v4, 0, v4, v3
	s_movk_i32 s2, 0xff70
	v_mad_i32_i24 v36, v41, s2, v5
	v_add_u32_e32 v5, 0x3f00, v4
	ds_read2_b64 v[12:15], v5 offset1:252
	v_mul_i32_i24_e32 v5, 0x90, v39
	v_add_u32_e32 v50, 0x5e80, v4
	v_add3_u32 v6, 0, v5, v3
	v_add_u32_e32 v7, 0x2400, v4
	v_mul_i32_i24_e32 v5, 0x90, v90
	ds_read_b64 v[34:35], v4
	ds_read2_b64 v[16:19], v50 offset1:252
	ds_read2_b32 v[40:41], v7 offset0:216 offset1:217
	v_add3_u32 v5, 0, v5, v3
	ds_read_b64 v[42:43], v6
	ds_read_b64 v[44:45], v36
	;; [unrolled: 1-line block ×3, first 2 shown]
	v_add_u32_e32 v20, 0x2f40, v4
	ds_read2_b64 v[20:23], v20 offset1:252
	v_add_u32_e32 v51, 0x4ec0, v4
	ds_read2_b64 v[24:27], v51 offset1:252
	;; [unrolled: 2-line block ×3, first 2 shown]
	v_mul_i32_i24_e32 v48, 0x90, v33
	v_add3_u32 v53, 0, v48, v3
	ds_read_b64 v[48:49], v53
	s_waitcnt vmcnt(0) lgkmcnt(0)
	s_barrier
	s_movk_i32 s2, 0x7ff8
	v_mul_f32_e32 v54, v9, v45
	v_fmac_f32_e32 v54, v8, v44
	v_mul_f32_e32 v44, v9, v44
	v_fma_f32 v44, v8, v45, -v44
	v_mul_f32_e32 v45, v11, v13
	v_fmac_f32_e32 v45, v10, v12
	v_mul_f32_e32 v12, v11, v12
	v_fma_f32 v12, v10, v13, -v12
	v_mul_f32_e32 v55, v15, v11
	v_mul_f32_e32 v13, v14, v11
	v_fmac_f32_e32 v55, v14, v10
	v_fma_f32 v14, v15, v10, -v13
	v_mul_f32_e32 v13, v2, v17
	v_fmac_f32_e32 v13, v1, v16
	v_mul_f32_e32 v15, v2, v16
	v_mul_f32_e32 v16, v41, v9
	v_fma_f32 v15, v1, v17, -v15
	v_fmac_f32_e32 v16, v8, v40
	v_mul_f32_e32 v17, v9, v40
	v_mul_f32_e32 v40, v19, v2
	v_fmac_f32_e32 v40, v18, v1
	v_mul_f32_e32 v18, v18, v2
	v_fma_f32 v17, v41, v8, -v17
	v_fma_f32 v18, v19, v1, -v18
	v_mul_f32_e32 v41, v21, v9
	v_mul_f32_e32 v19, v20, v9
	;; [unrolled: 1-line block ×4, first 2 shown]
	v_fmac_f32_e32 v41, v20, v8
	v_fma_f32 v56, v21, v8, -v19
	v_fmac_f32_e32 v57, v22, v8
	v_fma_f32 v58, v23, v8, -v9
	v_mul_f32_e32 v8, v24, v11
	v_mul_f32_e32 v22, v25, v11
	v_fma_f32 v23, v25, v10, -v8
	v_mul_f32_e32 v59, v27, v11
	v_mul_f32_e32 v8, v26, v11
	v_fmac_f32_e32 v22, v24, v10
	v_fmac_f32_e32 v59, v26, v10
	v_fma_f32 v60, v27, v10, -v8
	v_mul_f32_e32 v24, v29, v2
	v_mul_f32_e32 v8, v28, v2
	;; [unrolled: 1-line block ×4, first 2 shown]
	v_sub_f32_e32 v10, v44, v15
	v_fmac_f32_e32 v61, v30, v1
	v_fma_f32 v30, v31, v1, -v2
	v_sub_f32_e32 v19, v34, v45
	v_sub_f32_e32 v20, v35, v12
	;; [unrolled: 1-line block ×3, first 2 shown]
	v_fma_f32 v2, v44, 2.0, -v10
	v_lshlrev_b32_e32 v44, 2, v88
	v_fmac_f32_e32 v24, v28, v1
	v_fma_f32 v25, v29, v1, -v8
	v_fma_f32 v8, v34, 2.0, -v19
	v_fma_f32 v9, v35, 2.0, -v20
	;; [unrolled: 1-line block ×3, first 2 shown]
	v_and_or_b32 v45, v44, 56, v32
	v_sub_f32_e32 v1, v8, v1
	v_sub_f32_e32 v2, v9, v2
	v_add_f32_e32 v10, v19, v10
	v_sub_f32_e32 v11, v20, v11
	v_mul_u32_u24_e32 v45, 0x90, v45
	v_fma_f32 v8, v8, 2.0, -v1
	v_fma_f32 v9, v9, 2.0, -v2
	;; [unrolled: 1-line block ×4, first 2 shown]
	v_sub_f32_e32 v20, v42, v55
	v_sub_f32_e32 v27, v16, v40
	v_add3_u32 v45, 0, v45, v3
	v_sub_f32_e32 v21, v43, v14
	v_fma_f32 v19, v42, 2.0, -v20
	v_sub_f32_e32 v18, v17, v18
	v_fma_f32 v14, v16, 2.0, -v27
	ds_write2_b64 v45, v[8:9], v[12:13] offset1:36
	ds_write2_b64 v45, v[1:2], v[10:11] offset0:72 offset1:108
	v_lshlrev_b32_e32 v45, 2, v39
	v_fma_f32 v26, v43, 2.0, -v21
	v_fma_f32 v15, v17, 2.0, -v18
	v_sub_f32_e32 v14, v19, v14
	v_and_or_b32 v1, v45, s2, v32
	v_sub_f32_e32 v15, v26, v15
	v_fma_f32 v16, v19, 2.0, -v14
	v_add_f32_e32 v18, v20, v18
	v_sub_f32_e32 v19, v21, v27
	v_sub_f32_e32 v28, v46, v22
	;; [unrolled: 1-line block ×5, first 2 shown]
	v_mul_u32_u24_e32 v1, 0x90, v1
	v_fma_f32 v17, v26, 2.0, -v15
	v_fma_f32 v20, v20, 2.0, -v18
	;; [unrolled: 1-line block ×7, first 2 shown]
	v_add3_u32 v1, 0, v1, v3
	v_lshlrev_b32_e32 v46, 2, v90
	v_sub_f32_e32 v22, v26, v22
	v_sub_f32_e32 v23, v27, v23
	ds_write2_b64 v1, v[16:17], v[20:21] offset1:36
	ds_write2_b64 v1, v[14:15], v[18:19] offset0:72 offset1:108
	v_and_or_b32 v1, v46, s2, v32
	v_fma_f32 v24, v26, 2.0, -v22
	v_fma_f32 v25, v27, 2.0, -v23
	v_add_f32_e32 v26, v28, v34
	v_sub_f32_e32 v27, v29, v31
	v_mul_u32_u24_e32 v1, 0x90, v1
	v_fma_f32 v28, v28, 2.0, -v26
	v_fma_f32 v29, v29, 2.0, -v27
	v_sub_f32_e32 v42, v48, v59
	v_sub_f32_e32 v43, v49, v60
	;; [unrolled: 1-line block ×4, first 2 shown]
	v_add3_u32 v1, 0, v1, v3
	v_lshlrev_b32_e32 v47, 2, v33
	v_fma_f32 v34, v48, 2.0, -v42
	v_fma_f32 v35, v49, 2.0, -v43
	;; [unrolled: 1-line block ×4, first 2 shown]
	ds_write2_b64 v1, v[24:25], v[28:29] offset1:36
	ds_write2_b64 v1, v[22:23], v[26:27] offset0:72 offset1:108
	v_and_or_b32 v1, v47, s2, v32
	v_sub_f32_e32 v30, v34, v30
	v_sub_f32_e32 v31, v35, v31
	v_add_f32_e32 v40, v42, v40
	v_sub_f32_e32 v41, v43, v41
	v_mul_u32_u24_e32 v1, 0x90, v1
	v_fma_f32 v34, v34, 2.0, -v30
	v_fma_f32 v35, v35, 2.0, -v31
	;; [unrolled: 1-line block ×4, first 2 shown]
	v_add3_u32 v1, 0, v1, v3
	v_and_b32_e32 v48, 7, v88
	ds_write2_b64 v1, v[34:35], v[42:43] offset1:36
	ds_write2_b64 v1, v[30:31], v[40:41] offset0:72 offset1:108
	v_mul_u32_u24_e32 v1, 3, v48
	v_lshlrev_b32_e32 v24, 3, v1
	s_waitcnt lgkmcnt(0)
	s_barrier
	global_load_dwordx4 v[8:11], v24, s[18:19] offset:48
	v_and_b32_e32 v49, 7, v33
	v_mul_u32_u24_e32 v1, 3, v49
	v_and_b32_e32 v54, 7, v90
	v_lshlrev_b32_e32 v25, 3, v1
	global_load_dwordx4 v[12:15], v25, s[18:19] offset:48
	v_mul_u32_u24_e32 v1, 3, v54
	v_lshlrev_b32_e32 v26, 3, v1
	global_load_dwordx4 v[16:19], v26, s[18:19] offset:48
	v_and_b32_e32 v55, 7, v39
	v_mul_u32_u24_e32 v1, 3, v55
	v_lshlrev_b32_e32 v27, 3, v1
	global_load_dwordx4 v[20:23], v27, s[18:19] offset:48
	global_load_dwordx2 v[1:2], v24, s[18:19] offset:64
	global_load_dwordx2 v[28:29], v27, s[18:19] offset:64
	;; [unrolled: 1-line block ×4, first 2 shown]
	ds_read_b64 v[34:35], v36
	v_add_u32_e32 v24, 0x3720, v4
	ds_read2_b64 v[24:27], v24 offset1:252
	ds_read_b64 v[40:41], v6
	ds_read_b64 v[42:43], v5
	s_movk_i32 s2, 0x7fe0
	s_waitcnt vmcnt(7) lgkmcnt(3)
	v_mul_f32_e32 v36, v9, v35
	v_mul_f32_e32 v9, v9, v34
	v_fmac_f32_e32 v36, v8, v34
	v_fma_f32 v34, v8, v35, -v9
	s_waitcnt lgkmcnt(2)
	v_mul_f32_e32 v35, v11, v27
	v_mul_f32_e32 v8, v11, v26
	v_fmac_f32_e32 v35, v10, v26
	v_fma_f32 v26, v10, v27, -v8
	ds_read2_b64 v[8:11], v51 offset1:252
	s_waitcnt vmcnt(6)
	v_mul_f32_e32 v51, v25, v13
	v_mul_f32_e32 v13, v24, v13
	v_fmac_f32_e32 v51, v24, v12
	v_fma_f32 v56, v25, v12, -v13
	s_waitcnt lgkmcnt(0)
	v_mul_f32_e32 v57, v11, v15
	v_add_u32_e32 v12, 0x2760, v4
	v_fmac_f32_e32 v57, v10, v14
	v_mul_f32_e32 v10, v10, v15
	s_waitcnt vmcnt(5)
	v_mul_f32_e32 v24, v9, v19
	v_fma_f32 v58, v11, v14, -v10
	ds_read2_b64 v[10:13], v12 offset1:252
	v_fmac_f32_e32 v24, v8, v18
	v_mul_f32_e32 v8, v8, v19
	v_fma_f32 v25, v9, v18, -v8
	v_add_u32_e32 v8, 0x4400, v4
	ds_read2_b32 v[14:15], v8 offset0:184 offset1:185
	s_waitcnt lgkmcnt(1)
	v_mul_f32_e32 v8, v12, v17
	v_mul_f32_e32 v27, v13, v17
	v_fma_f32 v59, v13, v16, -v8
	s_waitcnt vmcnt(4)
	v_mul_f32_e32 v18, v21, v11
	v_mul_f32_e32 v8, v21, v10
	v_fmac_f32_e32 v27, v12, v16
	v_fmac_f32_e32 v18, v20, v10
	v_fma_f32 v19, v20, v11, -v8
	ds_read2_b64 v[8:11], v50 offset1:252
	s_waitcnt lgkmcnt(1)
	v_mul_f32_e32 v20, v15, v23
	v_mul_f32_e32 v12, v23, v14
	v_fmac_f32_e32 v20, v22, v14
	v_fma_f32 v21, v15, v22, -v12
	ds_read_b64 v[16:17], v4
	ds_read2_b64 v[12:15], v52 offset1:252
	s_waitcnt vmcnt(3) lgkmcnt(2)
	v_mul_f32_e32 v22, v2, v9
	v_mul_f32_e32 v2, v2, v8
	s_waitcnt vmcnt(2)
	v_mul_f32_e32 v23, v11, v29
	v_fmac_f32_e32 v22, v1, v8
	v_fma_f32 v8, v1, v9, -v2
	v_fmac_f32_e32 v23, v10, v28
	v_mul_f32_e32 v1, v10, v29
	s_waitcnt vmcnt(1) lgkmcnt(0)
	v_mul_f32_e32 v29, v13, v31
	v_mul_f32_e32 v9, v12, v31
	s_waitcnt vmcnt(0)
	v_mul_f32_e32 v50, v15, v33
	v_fma_f32 v28, v11, v28, -v1
	ds_read_b64 v[1:2], v53
	v_fmac_f32_e32 v29, v12, v30
	v_fma_f32 v30, v13, v30, -v9
	v_fmac_f32_e32 v50, v14, v32
	v_mul_f32_e32 v9, v14, v33
	v_sub_f32_e32 v14, v16, v35
	v_sub_f32_e32 v13, v36, v22
	;; [unrolled: 1-line block ×4, first 2 shown]
	v_fma_f32 v32, v15, v32, -v9
	v_sub_f32_e32 v15, v17, v26
	v_fma_f32 v10, v16, 2.0, -v14
	v_sub_f32_e32 v26, v41, v21
	v_fma_f32 v20, v40, 2.0, -v22
	;; [unrolled: 2-line block ×3, first 2 shown]
	v_fma_f32 v11, v17, 2.0, -v15
	v_fma_f32 v21, v41, 2.0, -v26
	;; [unrolled: 1-line block ×3, first 2 shown]
	v_sub_f32_e32 v16, v20, v16
	v_sub_f32_e32 v33, v43, v25
	;; [unrolled: 1-line block ×4, first 2 shown]
	v_fma_f32 v18, v20, 2.0, -v16
	v_add_f32_e32 v20, v22, v28
	v_fma_f32 v28, v43, 2.0, -v33
	v_fma_f32 v25, v59, 2.0, -v30
	;; [unrolled: 1-line block ×3, first 2 shown]
	v_sub_f32_e32 v21, v26, v23
	v_sub_f32_e32 v31, v42, v24
	;; [unrolled: 1-line block ×4, first 2 shown]
	v_fma_f32 v23, v26, 2.0, -v21
	v_fma_f32 v26, v42, 2.0, -v31
	;; [unrolled: 1-line block ×4, first 2 shown]
	v_add_f32_e32 v28, v31, v30
	v_sub_f32_e32 v29, v33, v29
	s_waitcnt lgkmcnt(0)
	v_sub_f32_e32 v35, v2, v58
	v_sub_f32_e32 v42, v56, v32
	v_fma_f32 v30, v31, 2.0, -v28
	v_fma_f32 v31, v33, 2.0, -v29
	;; [unrolled: 1-line block ×4, first 2 shown]
	v_sub_f32_e32 v12, v34, v8
	v_fma_f32 v8, v36, 2.0, -v13
	v_sub_f32_e32 v36, v51, v50
	v_sub_f32_e32 v41, v2, v33
	v_fma_f32 v9, v34, 2.0, -v12
	v_fma_f32 v32, v51, 2.0, -v36
	;; [unrolled: 1-line block ×3, first 2 shown]
	v_sub_f32_e32 v2, v35, v36
	v_and_or_b32 v36, v44, 32, v48
	v_sub_f32_e32 v8, v10, v8
	v_sub_f32_e32 v9, v11, v9
	v_add_f32_e32 v12, v14, v12
	v_sub_f32_e32 v13, v15, v13
	v_mul_u32_u24_e32 v36, 0x90, v36
	v_fma_f32 v10, v10, 2.0, -v8
	v_fma_f32 v11, v11, 2.0, -v9
	;; [unrolled: 1-line block ×4, first 2 shown]
	v_add3_u32 v36, 0, v36, v3
	s_barrier
	ds_write2_b64 v36, v[10:11], v[14:15] offset1:144
	v_add_u32_e32 v10, 0x800, v36
	ds_write2_b64 v10, v[8:9], v[12:13] offset0:32 offset1:176
	v_and_or_b32 v8, v45, s2, v55
	v_mul_u32_u24_e32 v8, 0x90, v8
	v_fma_f32 v22, v22, 2.0, -v20
	v_add3_u32 v8, 0, v8, v3
	ds_write2_b64 v8, v[18:19], v[22:23] offset1:144
	v_add_u32_e32 v8, 0x800, v8
	ds_write2_b64 v8, v[16:17], v[20:21] offset0:32 offset1:176
	v_and_or_b32 v8, v46, s2, v54
	v_sub_f32_e32 v24, v26, v24
	v_mul_u32_u24_e32 v8, 0x90, v8
	v_fma_f32 v26, v26, 2.0, -v24
	v_sub_f32_e32 v34, v1, v57
	v_add3_u32 v8, 0, v8, v3
	v_fma_f32 v1, v1, 2.0, -v34
	ds_write2_b64 v8, v[26:27], v[30:31] offset1:144
	v_add_u32_e32 v8, 0x800, v8
	v_sub_f32_e32 v40, v1, v32
	ds_write2_b64 v8, v[24:25], v[28:29] offset0:32 offset1:176
	v_and_or_b32 v8, v47, s2, v49
	v_fma_f32 v32, v1, 2.0, -v40
	v_add_f32_e32 v1, v34, v42
	v_mul_u32_u24_e32 v8, 0x90, v8
	v_fma_f32 v34, v34, 2.0, -v1
	v_fma_f32 v35, v35, 2.0, -v2
	v_add3_u32 v3, 0, v8, v3
	ds_write2_b64 v3, v[32:33], v[34:35] offset1:144
	v_add_u32_e32 v3, 0x800, v3
	ds_write2_b64 v3, v[40:41], v[1:2] offset0:32 offset1:176
	v_add_u32_e32 v3, 0x3600, v4
	s_waitcnt lgkmcnt(0)
	s_barrier
	ds_read2st64_b64 v[13:16], v4 offset1:9
	ds_read2_b64 v[17:20], v7 offset1:252
	ds_read2_b64 v[21:24], v3 offset1:252
	v_add_u32_e32 v3, 0x4800, v4
	ds_read2_b64 v[25:28], v3 offset1:252
	v_add_u32_e32 v3, 0x5a00, v4
	;; [unrolled: 2-line block ×3, first 2 shown]
	ds_read2_b64 v[33:36], v3 offset1:252
	ds_read_b64 v[42:43], v6
	ds_read_b64 v[44:45], v4 offset:6624
	s_movk_i32 s2, 0x48
	v_cmp_gt_u32_e64 s[2:3], s2, v0
                                        ; implicit-def: $vgpr12
                                        ; implicit-def: $vgpr8
	s_and_saveexec_b64 s[10:11], s[2:3]
	s_cbranch_execz .LBB0_12
; %bb.11:
	ds_read_b64 v[40:41], v5
	v_add_u32_e32 v5, 0x1c0, v4
	ds_read2st64_b64 v[1:4], v5 offset0:16 offset1:25
	ds_read2st64_b64 v[9:12], v5 offset0:34 offset1:43
	;; [unrolled: 1-line block ×3, first 2 shown]
.LBB0_12:
	s_or_b64 exec, exec, s[10:11]
	v_mul_u32_u24_e32 v46, 6, v88
	v_lshlrev_b32_e32 v46, 3, v46
	global_load_dwordx4 v[47:50], v46, s[18:19] offset:240
	global_load_dwordx4 v[51:54], v46, s[18:19] offset:256
	;; [unrolled: 1-line block ×3, first 2 shown]
	v_and_b32_e32 v46, 31, v39
	v_mul_u32_u24_e32 v59, 6, v46
	v_lshlrev_b32_e32 v71, 3, v59
	global_load_dwordx4 v[59:62], v71, s[18:19] offset:240
	global_load_dwordx4 v[63:66], v71, s[18:19] offset:256
	;; [unrolled: 1-line block ×3, first 2 shown]
	s_mov_b32 s10, 0xbf5ff5aa
	s_mov_b32 s11, 0x3f3bfb3b
	;; [unrolled: 1-line block ×4, first 2 shown]
	s_load_dwordx2 s[4:5], s[4:5], 0x8
	s_andn2_b64 vcc, exec, s[0:1]
	s_waitcnt vmcnt(5) lgkmcnt(0)
	v_mul_f32_e32 v71, v48, v16
	v_mul_f32_e32 v48, v48, v15
	;; [unrolled: 1-line block ×4, first 2 shown]
	s_waitcnt vmcnt(4)
	v_mul_f32_e32 v73, v52, v22
	v_mul_f32_e32 v52, v52, v21
	;; [unrolled: 1-line block ×4, first 2 shown]
	s_waitcnt vmcnt(3)
	v_mul_f32_e32 v75, v56, v30
	v_mul_f32_e32 v56, v56, v29
	;; [unrolled: 1-line block ×4, first 2 shown]
	v_fmac_f32_e32 v71, v47, v15
	v_fma_f32 v15, v47, v16, -v48
	v_fmac_f32_e32 v72, v49, v17
	v_fma_f32 v16, v49, v18, -v50
	;; [unrolled: 2-line block ×6, first 2 shown]
	s_waitcnt vmcnt(2)
	v_mul_f32_e32 v25, v62, v20
	v_mul_f32_e32 v26, v62, v19
	v_mul_f32_e32 v30, v60, v44
	s_waitcnt vmcnt(1)
	v_mul_f32_e32 v47, v28, v66
	v_mul_f32_e32 v48, v27, v66
	;; [unrolled: 1-line block ×4, first 2 shown]
	s_waitcnt vmcnt(0)
	v_mul_f32_e32 v50, v31, v68
	v_mul_f32_e32 v51, v36, v70
	;; [unrolled: 1-line block ×3, first 2 shown]
	v_fmac_f32_e32 v25, v61, v19
	v_fma_f32 v19, v61, v20, -v26
	v_fma_f32 v20, v59, v45, -v30
	v_fmac_f32_e32 v47, v27, v65
	v_fma_f32 v27, v28, v65, -v48
	v_add_f32_e32 v28, v71, v76
	v_add_f32_e32 v30, v15, v22
	v_sub_f32_e32 v15, v15, v22
	v_add_f32_e32 v22, v72, v75
	v_mul_f32_e32 v29, v60, v45
	v_mul_f32_e32 v49, v32, v68
	v_fmac_f32_e32 v33, v23, v63
	v_fma_f32 v26, v24, v63, -v34
	v_fma_f32 v23, v32, v67, -v50
	v_fmac_f32_e32 v51, v35, v69
	v_fma_f32 v24, v36, v69, -v52
	v_add_f32_e32 v32, v16, v21
	v_sub_f32_e32 v34, v72, v75
	v_sub_f32_e32 v16, v16, v21
	v_add_f32_e32 v21, v73, v74
	v_add_f32_e32 v35, v17, v18
	v_sub_f32_e32 v36, v74, v73
	v_sub_f32_e32 v17, v18, v17
	v_add_f32_e32 v18, v22, v28
	v_fmac_f32_e32 v29, v59, v44
	v_fmac_f32_e32 v49, v31, v67
	v_sub_f32_e32 v31, v71, v76
	v_add_f32_e32 v44, v32, v30
	v_add_f32_e32 v50, v36, v34
	;; [unrolled: 1-line block ×3, first 2 shown]
	v_sub_f32_e32 v45, v22, v28
	v_sub_f32_e32 v28, v28, v21
	;; [unrolled: 1-line block ×3, first 2 shown]
	v_add_f32_e32 v52, v17, v16
	v_sub_f32_e32 v53, v36, v34
	v_sub_f32_e32 v36, v31, v36
	;; [unrolled: 1-line block ×3, first 2 shown]
	v_add_f32_e32 v21, v35, v44
	v_add_f32_e32 v31, v50, v31
	;; [unrolled: 1-line block ×3, first 2 shown]
	v_sub_f32_e32 v48, v32, v30
	v_sub_f32_e32 v30, v30, v35
	;; [unrolled: 1-line block ×6, first 2 shown]
	v_add_f32_e32 v15, v52, v15
	v_add_f32_e32 v52, v21, v14
	v_mov_b32_e32 v55, v50
	v_mul_f32_e32 v13, 0x3f4a47b2, v28
	v_mul_f32_e32 v14, 0x3f4a47b2, v30
	;; [unrolled: 1-line block ×6, first 2 shown]
	v_fmac_f32_e32 v55, 0xbf955555, v18
	v_mov_b32_e32 v18, v52
	v_mul_f32_e32 v44, 0x3f08b237, v54
	v_mul_f32_e32 v54, 0xbf5ff5aa, v16
	v_fmac_f32_e32 v18, 0xbf955555, v21
	v_fma_f32 v21, v45, s11, -v28
	v_fma_f32 v28, v48, s11, -v30
	;; [unrolled: 1-line block ×3, first 2 shown]
	v_fmac_f32_e32 v13, 0x3d64c772, v22
	v_fma_f32 v22, v48, s20, -v14
	v_fmac_f32_e32 v14, 0x3d64c772, v32
	v_fma_f32 v32, v34, s10, -v35
	v_fma_f32 v34, v36, s21, -v53
	v_fmac_f32_e32 v35, 0xbeae86e6, v36
	v_fma_f32 v16, v16, s10, -v44
	v_fmac_f32_e32 v44, 0xbeae86e6, v17
	v_fma_f32 v36, v17, s21, -v54
	v_add_f32_e32 v45, v14, v18
	v_add_f32_e32 v17, v28, v18
	;; [unrolled: 1-line block ×3, first 2 shown]
	v_fmac_f32_e32 v34, 0xbee1c552, v31
	v_fmac_f32_e32 v44, 0xbee1c552, v15
	;; [unrolled: 1-line block ×4, first 2 shown]
	v_sub_f32_e32 v56, v18, v34
	v_add_f32_e32 v15, v34, v18
	v_mul_lo_u32 v18, v37, v88
	v_add_f32_e32 v13, v13, v55
	v_fmac_f32_e32 v35, 0xbee1c552, v31
	v_add_f32_e32 v53, v44, v13
	v_sub_f32_e32 v60, v13, v44
	v_mov_b32_e32 v13, 3
	v_sub_f32_e32 v54, v45, v35
	v_add_f32_e32 v61, v35, v45
	v_lshlrev_b32_sdwa v34, v13, v18 dst_sel:DWORD dst_unused:UNUSED_PAD src0_sel:DWORD src1_sel:BYTE_0
	v_lshlrev_b32_sdwa v35, v13, v18 dst_sel:DWORD dst_unused:UNUSED_PAD src0_sel:DWORD src1_sel:BYTE_1
	v_or_b32_e32 v18, 32, v88
	v_mul_lo_u32 v18, v37, v18
	v_add_f32_e32 v14, v21, v55
	v_add_f32_e32 v21, v30, v55
	v_fmac_f32_e32 v32, 0xbee1c552, v31
	v_add_f32_e32 v55, v36, v21
	v_sub_f32_e32 v57, v14, v16
	v_add_f32_e32 v63, v32, v17
	v_add_f32_e32 v16, v16, v14
	v_sub_f32_e32 v17, v17, v32
	v_sub_f32_e32 v14, v21, v36
	v_add_f32_e32 v30, v20, v24
	v_sub_f32_e32 v31, v20, v24
	v_add_f32_e32 v32, v25, v49
	v_add_f32_e32 v36, v19, v23
	v_sub_f32_e32 v44, v25, v49
	v_sub_f32_e32 v45, v19, v23
	v_lshlrev_b32_sdwa v48, v13, v18 dst_sel:DWORD dst_unused:UNUSED_PAD src0_sel:DWORD src1_sel:BYTE_0
	v_lshlrev_b32_sdwa v49, v13, v18 dst_sel:DWORD dst_unused:UNUSED_PAD src0_sel:DWORD src1_sel:BYTE_1
	global_load_dwordx2 v[18:19], v34, s[4:5]
	global_load_dwordx2 v[20:21], v35, s[4:5] offset:2048
	global_load_dwordx2 v[22:23], v48, s[4:5]
	global_load_dwordx2 v[24:25], v49, s[4:5] offset:2048
	v_or_b32_e32 v58, 64, v88
	v_mul_lo_u32 v58, v37, v58
	v_add_f32_e32 v35, v26, v27
	v_sub_f32_e32 v26, v27, v26
	v_add_f32_e32 v59, v26, v45
	v_sub_f32_e32 v64, v26, v45
	v_sub_f32_e32 v67, v31, v26
	v_or_b32_e32 v26, 0x60, v88
	v_add_f32_e32 v28, v29, v51
	v_add_f32_e32 v34, v33, v47
	v_sub_f32_e32 v33, v47, v33
	v_sub_f32_e32 v45, v45, v31
	v_add_f32_e32 v73, v59, v31
	v_mul_lo_u32 v31, v37, v26
	v_sub_f32_e32 v29, v29, v51
	v_add_f32_e32 v27, v32, v28
	v_sub_f32_e32 v48, v32, v28
	v_sub_f32_e32 v28, v28, v34
	;; [unrolled: 1-line block ×3, first 2 shown]
	v_add_f32_e32 v32, v33, v44
	v_lshlrev_b32_sdwa v65, v13, v58 dst_sel:DWORD dst_unused:UNUSED_PAD src0_sel:DWORD src1_sel:BYTE_0
	v_sub_f32_e32 v62, v33, v44
	v_lshlrev_b32_sdwa v58, v13, v58 dst_sel:DWORD dst_unused:UNUSED_PAD src0_sel:DWORD src1_sel:BYTE_1
	v_sub_f32_e32 v66, v29, v33
	v_sub_f32_e32 v44, v44, v29
	v_add_f32_e32 v34, v34, v27
	v_add_f32_e32 v68, v32, v29
	v_mul_f32_e32 v59, 0x3f4a47b2, v28
	global_load_dwordx2 v[26:27], v65, s[4:5]
	global_load_dwordx2 v[28:29], v58, s[4:5] offset:2048
	v_add_f32_e32 v47, v36, v30
	v_sub_f32_e32 v49, v36, v30
	v_sub_f32_e32 v30, v30, v35
	;; [unrolled: 1-line block ×3, first 2 shown]
	v_add_f32_e32 v47, v35, v47
	v_lshlrev_b32_sdwa v35, v13, v31 dst_sel:DWORD dst_unused:UNUSED_PAD src0_sel:DWORD src1_sel:BYTE_0
	v_add_f32_e32 v72, v34, v42
	v_mul_f32_e32 v58, 0x3f4a47b2, v30
	v_lshlrev_b32_sdwa v42, v13, v31 dst_sel:DWORD dst_unused:UNUSED_PAD src0_sel:DWORD src1_sel:BYTE_1
	global_load_dwordx2 v[30:31], v35, s[4:5]
	global_load_dwordx2 v[32:33], v42, s[4:5] offset:2048
	v_or_b32_e32 v35, 0x80, v88
	v_mul_lo_u32 v35, v37, v35
	v_mul_f32_e32 v69, 0x3d64c772, v36
	v_fma_f32 v69, v49, s11, -v69
	v_fma_f32 v49, v49, s20, -v58
	v_fmac_f32_e32 v58, 0x3d64c772, v36
	v_or_b32_e32 v36, 0xa0, v88
	v_mul_lo_u32 v36, v37, v36
	v_add_f32_e32 v74, v47, v43
	v_mul_f32_e32 v76, 0x3f08b237, v64
	v_mov_b32_e32 v64, v72
	v_lshlrev_b32_sdwa v70, v13, v35 dst_sel:DWORD dst_unused:UNUSED_PAD src0_sel:DWORD src1_sel:BYTE_0
	v_fmac_f32_e32 v64, 0xbf955555, v34
	v_lshlrev_b32_sdwa v71, v13, v35 dst_sel:DWORD dst_unused:UNUSED_PAD src0_sel:DWORD src1_sel:BYTE_1
	global_load_dwordx2 v[34:35], v70, s[4:5]
	global_load_dwordx2 v[42:43], v71, s[4:5] offset:2048
	v_mov_b32_e32 v70, v74
	v_mul_f32_e32 v65, 0x3d64c772, v51
	v_fmac_f32_e32 v70, 0xbf955555, v47
	v_mul_f32_e32 v75, 0x3f08b237, v62
	v_mul_f32_e32 v47, 0xbf5ff5aa, v45
	v_fma_f32 v65, v48, s11, -v65
	v_fma_f32 v48, v48, s20, -v59
	v_add_f32_e32 v119, v49, v70
	v_lshlrev_b32_sdwa v49, v13, v36 dst_sel:DWORD dst_unused:UNUSED_PAD src0_sel:DWORD src1_sel:BYTE_0
	v_lshlrev_b32_sdwa v36, v13, v36 dst_sel:DWORD dst_unused:UNUSED_PAD src0_sel:DWORD src1_sel:BYTE_1
	v_mul_f32_e32 v62, 0xbf5ff5aa, v44
	v_fma_f32 v85, v44, s10, -v75
	v_fma_f32 v111, v45, s10, -v76
	;; [unrolled: 1-line block ×3, first 2 shown]
	v_add_f32_e32 v118, v48, v64
	global_load_dwordx2 v[44:45], v49, s[4:5]
	global_load_dwordx2 v[47:48], v36, s[4:5] offset:2048
	v_fmac_f32_e32 v59, 0x3d64c772, v51
	v_add_f32_e32 v115, v58, v70
	v_add_f32_e32 v114, v59, v64
	;; [unrolled: 1-line block ×3, first 2 shown]
	v_mul_lo_u32 v51, v37, v46
	v_fmac_f32_e32 v75, 0xbeae86e6, v66
	v_fma_f32 v112, v66, s21, -v62
	s_waitcnt vmcnt(10)
	v_mul_f32_e32 v36, v19, v21
	v_fma_f32 v36, v18, v20, -v36
	v_mul_f32_e32 v18, v18, v21
	v_fmac_f32_e32 v18, v19, v20
	v_or_b32_e32 v19, 0xc0, v88
	v_mul_lo_u32 v19, v37, v19
	v_mul_f32_e32 v58, v52, v18
	v_mul_f32_e32 v18, v50, v18
	v_fmac_f32_e32 v58, v50, v36
	v_lshlrev_b32_sdwa v49, v13, v19 dst_sel:DWORD dst_unused:UNUSED_PAD src0_sel:DWORD src1_sel:BYTE_0
	v_fma_f32 v59, v52, v36, -v18
	v_lshlrev_b32_sdwa v50, v13, v19 dst_sel:DWORD dst_unused:UNUSED_PAD src0_sel:DWORD src1_sel:BYTE_1
	global_load_dwordx2 v[18:19], v49, s[4:5]
	global_load_dwordx2 v[20:21], v50, s[4:5] offset:2048
	s_waitcnt vmcnt(10)
	v_mul_f32_e32 v36, v23, v25
	v_fma_f32 v36, v22, v24, -v36
	v_mul_f32_e32 v22, v22, v25
	v_fmac_f32_e32 v22, v23, v24
	v_or_b32_e32 v49, 32, v46
	v_mul_f32_e32 v64, v54, v22
	v_mul_f32_e32 v22, v53, v22
	v_mul_lo_u32 v49, v37, v49
	v_fma_f32 v65, v54, v36, -v22
	v_or_b32_e32 v24, 64, v46
	v_mul_lo_u32 v24, v37, v24
	v_fmac_f32_e32 v76, 0xbeae86e6, v67
	v_lshlrev_b32_sdwa v25, v13, v51 dst_sel:DWORD dst_unused:UNUSED_PAD src0_sel:DWORD src1_sel:BYTE_0
	v_lshlrev_b32_sdwa v50, v13, v51 dst_sel:DWORD dst_unused:UNUSED_PAD src0_sel:DWORD src1_sel:BYTE_1
	global_load_dwordx2 v[77:78], v25, s[4:5]
	global_load_dwordx2 v[79:80], v50, s[4:5] offset:2048
	v_lshlrev_b32_sdwa v25, v13, v49 dst_sel:DWORD dst_unused:UNUSED_PAD src0_sel:DWORD src1_sel:BYTE_0
	v_lshlrev_b32_sdwa v49, v13, v49 dst_sel:DWORD dst_unused:UNUSED_PAD src0_sel:DWORD src1_sel:BYTE_1
	v_fmac_f32_e32 v75, 0xbee1c552, v68
	s_waitcnt vmcnt(10)
	v_mul_f32_e32 v23, v26, v29
	v_mul_f32_e32 v22, v27, v29
	v_fmac_f32_e32 v23, v27, v28
	v_fma_f32 v22, v26, v28, -v22
	v_mul_f32_e32 v66, v56, v23
	v_mul_f32_e32 v23, v55, v23
	v_fma_f32 v67, v56, v22, -v23
	v_fmac_f32_e32 v66, v55, v22
	v_or_b32_e32 v26, 0x60, v46
	v_mul_lo_u32 v26, v37, v26
	s_waitcnt vmcnt(8)
	v_mul_f32_e32 v23, v30, v33
	v_mul_f32_e32 v22, v31, v33
	v_fmac_f32_e32 v23, v31, v32
	v_fma_f32 v22, v30, v32, -v22
	v_mul_f32_e32 v62, v63, v23
	v_mul_f32_e32 v23, v57, v23
	v_fma_f32 v63, v63, v22, -v23
	v_lshlrev_b32_sdwa v23, v13, v24 dst_sel:DWORD dst_unused:UNUSED_PAD src0_sel:DWORD src1_sel:BYTE_0
	v_lshlrev_b32_sdwa v24, v13, v24 dst_sel:DWORD dst_unused:UNUSED_PAD src0_sel:DWORD src1_sel:BYTE_1
	global_load_dwordx2 v[81:82], v25, s[4:5]
	global_load_dwordx2 v[83:84], v49, s[4:5] offset:2048
	global_load_dwordx2 v[91:92], v23, s[4:5]
	global_load_dwordx2 v[93:94], v24, s[4:5] offset:2048
	v_or_b32_e32 v25, 0x80, v46
	v_mul_lo_u32 v25, v37, v25
	v_lshlrev_b32_sdwa v24, v13, v26 dst_sel:DWORD dst_unused:UNUSED_PAD src0_sel:DWORD src1_sel:BYTE_0
	v_lshlrev_b32_sdwa v26, v13, v26 dst_sel:DWORD dst_unused:UNUSED_PAD src0_sel:DWORD src1_sel:BYTE_1
	v_fmac_f32_e32 v62, v57, v22
	v_lshlrev_b32_sdwa v27, v13, v25 dst_sel:DWORD dst_unused:UNUSED_PAD src0_sel:DWORD src1_sel:BYTE_0
	v_lshlrev_b32_sdwa v25, v13, v25 dst_sel:DWORD dst_unused:UNUSED_PAD src0_sel:DWORD src1_sel:BYTE_1
	global_load_dwordx2 v[95:96], v24, s[4:5]
	global_load_dwordx2 v[97:98], v26, s[4:5] offset:2048
	global_load_dwordx2 v[99:100], v27, s[4:5]
	global_load_dwordx2 v[101:102], v25, s[4:5] offset:2048
	v_or_b32_e32 v24, 0xa0, v46
	s_waitcnt vmcnt(14)
	v_mul_f32_e32 v23, v34, v43
	v_mul_lo_u32 v24, v37, v24
	v_mul_f32_e32 v22, v35, v43
	v_fmac_f32_e32 v23, v35, v42
	v_fmac_f32_e32 v85, 0xbee1c552, v68
	;; [unrolled: 1-line block ×3, first 2 shown]
	v_fma_f32 v22, v34, v42, -v22
	v_mul_f32_e32 v68, v17, v23
	v_fmac_f32_e32 v68, v16, v22
	v_mul_f32_e32 v16, v16, v23
	v_add_f32_e32 v117, v69, v70
	v_fma_f32 v69, v17, v22, -v16
	v_lshlrev_b32_sdwa v17, v13, v24 dst_sel:DWORD dst_unused:UNUSED_PAD src0_sel:DWORD src1_sel:BYTE_0
	v_lshlrev_b32_sdwa v22, v13, v24 dst_sel:DWORD dst_unused:UNUSED_PAD src0_sel:DWORD src1_sel:BYTE_1
	s_waitcnt vmcnt(12)
	v_mul_f32_e32 v24, v44, v48
	v_mul_f32_e32 v16, v45, v48
	v_or_b32_e32 v23, 0xc0, v46
	v_fmac_f32_e32 v24, v45, v47
	v_mul_lo_u32 v23, v37, v23
	v_fma_f32 v16, v44, v47, -v16
	v_mul_f32_e32 v70, v15, v24
	v_fmac_f32_e32 v70, v14, v16
	v_mul_f32_e32 v14, v14, v24
	v_fma_f32 v71, v15, v16, -v14
	v_lshlrev_b32_sdwa v25, v13, v23 dst_sel:DWORD dst_unused:UNUSED_PAD src0_sel:DWORD src1_sel:BYTE_0
	v_lshlrev_b32_sdwa v23, v13, v23 dst_sel:DWORD dst_unused:UNUSED_PAD src0_sel:DWORD src1_sel:BYTE_1
	global_load_dwordx2 v[103:104], v17, s[4:5]
	global_load_dwordx2 v[105:106], v22, s[4:5] offset:2048
	global_load_dwordx2 v[107:108], v25, s[4:5]
	global_load_dwordx2 v[109:110], v23, s[4:5] offset:2048
	v_fmac_f32_e32 v64, v53, v36
	v_fmac_f32_e32 v76, 0xbee1c552, v73
	;; [unrolled: 1-line block ×4, first 2 shown]
	v_add_f32_e32 v73, v111, v116
	s_waitcnt vmcnt(14)
	v_mul_f32_e32 v14, v19, v21
	v_fma_f32 v87, v18, v20, -v14
	v_mul_f32_e32 v120, v18, v21
	v_and_b32_e32 v14, 31, v90
	v_fmac_f32_e32 v120, v19, v20
	v_mul_lo_u32 v16, v37, v14
	v_or_b32_e32 v17, 32, v14
	v_or_b32_e32 v19, 64, v14
	v_mul_lo_u32 v17, v37, v17
	v_mul_lo_u32 v19, v37, v19
	v_or_b32_e32 v20, 0x60, v14
	v_mul_lo_u32 v20, v37, v20
	v_mul_u32_u24_e32 v15, 6, v14
	v_lshlrev_b32_e32 v86, 3, v15
	v_lshlrev_b32_sdwa v15, v13, v16 dst_sel:DWORD dst_unused:UNUSED_PAD src0_sel:DWORD src1_sel:BYTE_0
	v_lshlrev_b32_sdwa v16, v13, v16 dst_sel:DWORD dst_unused:UNUSED_PAD src0_sel:DWORD src1_sel:BYTE_1
	v_lshlrev_b32_sdwa v18, v13, v17 dst_sel:DWORD dst_unused:UNUSED_PAD src0_sel:DWORD src1_sel:BYTE_0
	v_lshlrev_b32_sdwa v17, v13, v17 dst_sel:DWORD dst_unused:UNUSED_PAD src0_sel:DWORD src1_sel:BYTE_1
	global_load_dwordx2 v[50:51], v15, s[4:5]
	global_load_dwordx2 v[52:53], v16, s[4:5] offset:2048
	global_load_dwordx2 v[33:34], v18, s[4:5]
	global_load_dwordx2 v[35:36], v17, s[4:5] offset:2048
	v_lshlrev_b32_sdwa v15, v13, v19 dst_sel:DWORD dst_unused:UNUSED_PAD src0_sel:DWORD src1_sel:BYTE_0
	v_lshlrev_b32_sdwa v16, v13, v19 dst_sel:DWORD dst_unused:UNUSED_PAD src0_sel:DWORD src1_sel:BYTE_1
	v_or_b32_e32 v19, 0x80, v14
	v_lshlrev_b32_sdwa v17, v13, v20 dst_sel:DWORD dst_unused:UNUSED_PAD src0_sel:DWORD src1_sel:BYTE_0
	v_lshlrev_b32_sdwa v18, v13, v20 dst_sel:DWORD dst_unused:UNUSED_PAD src0_sel:DWORD src1_sel:BYTE_1
	v_mul_lo_u32 v19, v37, v19
	global_load_dwordx2 v[42:43], v15, s[4:5]
	global_load_dwordx2 v[44:45], v16, s[4:5] offset:2048
	global_load_dwordx2 v[29:30], v17, s[4:5]
	global_load_dwordx2 v[31:32], v18, s[4:5] offset:2048
	v_or_b32_e32 v15, 0xa0, v14
	v_or_b32_e32 v14, 0xc0, v14
	v_mul_lo_u32 v15, v37, v15
	v_mul_lo_u32 v14, v37, v14
	v_lshlrev_b32_sdwa v121, v13, v19 dst_sel:DWORD dst_unused:UNUSED_PAD src0_sel:DWORD src1_sel:BYTE_0
	v_lshlrev_b32_sdwa v122, v13, v19 dst_sel:DWORD dst_unused:UNUSED_PAD src0_sel:DWORD src1_sel:BYTE_1
	v_lshlrev_b32_sdwa v123, v13, v15 dst_sel:DWORD dst_unused:UNUSED_PAD src0_sel:DWORD src1_sel:BYTE_0
	v_lshlrev_b32_sdwa v124, v13, v15 dst_sel:DWORD dst_unused:UNUSED_PAD src0_sel:DWORD src1_sel:BYTE_1
	;; [unrolled: 2-line block ×3, first 2 shown]
	global_load_dwordx2 v[54:55], v121, s[4:5]
	global_load_dwordx2 v[56:57], v122, s[4:5] offset:2048
	global_load_dwordx2 v[46:47], v123, s[4:5]
	global_load_dwordx2 v[48:49], v124, s[4:5] offset:2048
	;; [unrolled: 2-line block ×3, first 2 shown]
	global_load_dwordx4 v[13:16], v86, s[18:19] offset:272
	global_load_dwordx4 v[17:20], v86, s[18:19] offset:256
	;; [unrolled: 1-line block ×3, first 2 shown]
	v_mul_f32_e32 v86, v61, v120
	v_fmac_f32_e32 v86, v60, v87
	v_mul_f32_e32 v60, v60, v120
	v_fma_f32 v87, v61, v87, -v60
	s_waitcnt vmcnt(29)
	v_mul_f32_e32 v60, v78, v80
	v_mul_f32_e32 v61, v77, v80
	v_fma_f32 v60, v77, v79, -v60
	v_fmac_f32_e32 v61, v78, v79
	s_waitcnt vmcnt(27)
	v_mul_f32_e32 v77, v82, v84
	v_mul_f32_e32 v78, v81, v84
	v_fma_f32 v77, v81, v83, -v77
	v_fmac_f32_e32 v78, v82, v83
	v_mul_f32_e32 v82, v74, v61
	v_mul_f32_e32 v61, v72, v61
	v_add_f32_e32 v81, v76, v114
	v_fma_f32 v83, v74, v60, -v61
	v_sub_f32_e32 v114, v114, v76
	v_sub_f32_e32 v76, v115, v75
	v_fmac_f32_e32 v82, v72, v60
	v_mul_f32_e32 v60, v81, v78
	s_waitcnt vmcnt(25)
	v_mul_f32_e32 v72, v91, v94
	v_sub_f32_e32 v61, v116, v111
	v_add_f32_e32 v74, v85, v117
	v_sub_f32_e32 v111, v117, v85
	v_add_f32_e32 v79, v113, v118
	v_sub_f32_e32 v80, v119, v112
	v_fma_f32 v85, v76, v77, -v60
	v_mul_f32_e32 v60, v92, v94
	v_fmac_f32_e32 v72, v92, v93
	v_mul_f32_e32 v84, v76, v78
	v_fma_f32 v60, v91, v93, -v60
	v_mul_f32_e32 v78, v80, v72
	v_mul_f32_e32 v72, v79, v72
	v_fmac_f32_e32 v78, v79, v60
	v_fma_f32 v79, v80, v60, -v72
	s_waitcnt vmcnt(23)
	v_mul_f32_e32 v72, v95, v98
	v_mul_f32_e32 v60, v96, v98
	v_fmac_f32_e32 v72, v96, v97
	v_fma_f32 v60, v95, v97, -v60
	v_mul_f32_e32 v80, v74, v72
	v_fmac_f32_e32 v80, v61, v60
	v_mul_f32_e32 v61, v61, v72
	v_fmac_f32_e32 v84, v81, v77
	v_fma_f32 v81, v74, v60, -v61
	s_waitcnt vmcnt(21)
	v_mul_f32_e32 v61, v99, v102
	v_mul_f32_e32 v60, v100, v102
	v_fmac_f32_e32 v61, v100, v101
	v_fma_f32 v60, v99, v101, -v60
	v_mul_f32_e32 v74, v111, v61
	v_mul_f32_e32 v61, v73, v61
	v_add_f32_e32 v115, v75, v115
	v_fma_f32 v75, v111, v60, -v61
	s_waitcnt vmcnt(19)
	v_mul_f32_e32 v61, v103, v106
	v_sub_f32_e32 v113, v118, v113
	v_add_f32_e32 v112, v112, v119
	v_fmac_f32_e32 v74, v73, v60
	v_mul_f32_e32 v60, v104, v106
	v_fmac_f32_e32 v61, v104, v105
	v_fma_f32 v60, v103, v105, -v60
	v_mul_f32_e32 v76, v112, v61
	v_mul_f32_e32 v61, v113, v61
	v_fma_f32 v77, v112, v60, -v61
	s_waitcnt vmcnt(17)
	v_mul_f32_e32 v61, v107, v110
	v_fmac_f32_e32 v76, v113, v60
	v_mul_f32_e32 v60, v108, v110
	v_fmac_f32_e32 v61, v108, v109
	v_fma_f32 v60, v107, v109, -v60
	v_mul_f32_e32 v72, v115, v61
	v_mul_f32_e32 v61, v114, v61
	s_movk_i32 s4, 0xc0
	v_fmac_f32_e32 v72, v114, v60
	v_fma_f32 v73, v115, v60, -v61
	s_cbranch_vccnz .LBB0_14
; %bb.13:
	v_mad_u64_u32 v[60:61], s[0:1], s8, v89, 0
	s_movk_i32 s0, 0x23f
	v_mov_b32_e32 v91, 0xe0
	v_cmp_lt_u32_e32 vcc, s0, v0
	v_cndmask_b32_e32 v91, 0, v91, vcc
	v_or_b32_e32 v97, v88, v91
	v_mad_u64_u32 v[91:92], s[0:1], s12, v97, 0
	v_mad_u64_u32 v[93:94], s[0:1], s9, v89, v[61:62]
	v_mov_b32_e32 v61, v92
	v_mad_u64_u32 v[94:95], s[0:1], s13, v97, v[61:62]
	s_lshl_b64 s[0:1], s[6:7], 3
	s_add_u32 s5, s14, s0
	s_addc_u32 s0, s15, s1
	v_add_u32_e32 v96, 32, v97
	v_mov_b32_e32 v61, v93
	v_mov_b32_e32 v92, v94
	;; [unrolled: 1-line block ×3, first 2 shown]
	v_mad_u64_u32 v[93:94], s[0:1], s12, v96, 0
	v_lshlrev_b64 v[60:61], 3, v[60:61]
	v_lshlrev_b64 v[91:92], 3, v[91:92]
	v_add_co_u32_e32 v60, vcc, s5, v60
	v_addc_co_u32_e32 v61, vcc, v95, v61, vcc
	v_mad_u64_u32 v[94:95], s[0:1], s13, v96, v[94:95]
	v_add_co_u32_e32 v91, vcc, v60, v91
	v_addc_co_u32_e32 v92, vcc, v61, v92, vcc
	v_add_u32_e32 v95, 64, v97
	global_store_dwordx2 v[91:92], v[58:59], off
	v_lshlrev_b64 v[91:92], 3, v[93:94]
	v_mad_u64_u32 v[93:94], s[0:1], s12, v95, 0
	v_add_u32_e32 v98, 0x60, v97
	v_add_co_u32_e32 v91, vcc, v60, v91
	v_mad_u64_u32 v[94:95], s[0:1], s13, v95, v[94:95]
	v_mad_u64_u32 v[95:96], s[0:1], s12, v98, 0
	v_addc_co_u32_e32 v92, vcc, v61, v92, vcc
	global_store_dwordx2 v[91:92], v[64:65], off
	v_lshlrev_b64 v[91:92], 3, v[93:94]
	v_mov_b32_e32 v93, v96
	v_mad_u64_u32 v[93:94], s[0:1], s13, v98, v[93:94]
	v_add_co_u32_e32 v91, vcc, v60, v91
	v_addc_co_u32_e32 v92, vcc, v61, v92, vcc
	v_mov_b32_e32 v96, v93
	global_store_dwordx2 v[91:92], v[66:67], off
	v_lshlrev_b64 v[91:92], 3, v[95:96]
	v_add_u32_e32 v95, 0x80, v97
	v_mad_u64_u32 v[93:94], s[0:1], s12, v95, 0
	v_add_u32_e32 v98, 0xa0, v97
	v_add_co_u32_e32 v91, vcc, v60, v91
	v_mad_u64_u32 v[94:95], s[0:1], s13, v95, v[94:95]
	v_mad_u64_u32 v[95:96], s[0:1], s12, v98, 0
	v_addc_co_u32_e32 v92, vcc, v61, v92, vcc
	global_store_dwordx2 v[91:92], v[62:63], off
	v_lshlrev_b64 v[91:92], 3, v[93:94]
	v_mov_b32_e32 v93, v96
	v_mad_u64_u32 v[93:94], s[0:1], s13, v98, v[93:94]
	v_add_co_u32_e32 v91, vcc, v60, v91
	v_addc_co_u32_e32 v92, vcc, v61, v92, vcc
	v_mov_b32_e32 v96, v93
	global_store_dwordx2 v[91:92], v[68:69], off
	v_lshlrev_b64 v[91:92], 3, v[95:96]
	v_add_u32_e32 v97, 0xc0, v97
	v_lshrrev_b32_e32 v95, 5, v39
	v_mad_u64_u32 v[93:94], s[0:1], s12, v97, 0
	v_mad_u64_u32 v[95:96], s[0:1], v95, s4, v[39:40]
	v_add_co_u32_e32 v91, vcc, v60, v91
	v_mad_u64_u32 v[96:97], s[0:1], s13, v97, v[94:95]
	v_mad_u64_u32 v[97:98], s[0:1], s12, v95, 0
	v_addc_co_u32_e32 v92, vcc, v61, v92, vcc
	v_mov_b32_e32 v94, v96
	global_store_dwordx2 v[91:92], v[70:71], off
	v_lshlrev_b64 v[91:92], 3, v[93:94]
	v_mov_b32_e32 v93, v98
	v_mad_u64_u32 v[93:94], s[0:1], s13, v95, v[93:94]
	v_add_u32_e32 v96, 32, v95
	v_add_co_u32_e32 v91, vcc, v60, v91
	v_mov_b32_e32 v98, v93
	v_mad_u64_u32 v[93:94], s[0:1], s12, v96, 0
	v_addc_co_u32_e32 v92, vcc, v61, v92, vcc
	global_store_dwordx2 v[91:92], v[86:87], off
	v_lshlrev_b64 v[91:92], 3, v[97:98]
	v_mad_u64_u32 v[96:97], s[0:1], s13, v96, v[94:95]
	v_add_u32_e32 v99, 64, v95
	v_mad_u64_u32 v[97:98], s[0:1], s12, v99, 0
	v_add_co_u32_e32 v91, vcc, v60, v91
	v_addc_co_u32_e32 v92, vcc, v61, v92, vcc
	v_mov_b32_e32 v94, v96
	global_store_dwordx2 v[91:92], v[82:83], off
	v_lshlrev_b64 v[91:92], 3, v[93:94]
	v_mov_b32_e32 v93, v98
	v_mad_u64_u32 v[93:94], s[0:1], s13, v99, v[93:94]
	v_add_u32_e32 v96, 0x60, v95
	v_add_co_u32_e32 v91, vcc, v60, v91
	v_mov_b32_e32 v98, v93
	v_mad_u64_u32 v[93:94], s[0:1], s12, v96, 0
	v_addc_co_u32_e32 v92, vcc, v61, v92, vcc
	global_store_dwordx2 v[91:92], v[84:85], off
	v_lshlrev_b64 v[91:92], 3, v[97:98]
	v_mad_u64_u32 v[96:97], s[0:1], s13, v96, v[94:95]
	v_add_u32_e32 v99, 0x80, v95
	v_mad_u64_u32 v[97:98], s[0:1], s12, v99, 0
	v_add_co_u32_e32 v91, vcc, v60, v91
	;; [unrolled: 17-line block ×3, first 2 shown]
	v_addc_co_u32_e32 v92, vcc, v61, v92, vcc
	v_mov_b32_e32 v94, v96
	global_store_dwordx2 v[91:92], v[74:75], off
	v_lshlrev_b64 v[91:92], 3, v[93:94]
	v_mov_b32_e32 v93, v98
	v_mad_u64_u32 v[93:94], s[0:1], s13, v95, v[93:94]
	v_add_co_u32_e32 v91, vcc, v60, v91
	v_addc_co_u32_e32 v92, vcc, v61, v92, vcc
	v_mov_b32_e32 v98, v93
	global_store_dwordx2 v[91:92], v[76:77], off
	v_lshlrev_b64 v[91:92], 3, v[97:98]
	v_add_co_u32_e32 v91, vcc, v60, v91
	v_addc_co_u32_e32 v92, vcc, v61, v92, vcc
	s_and_b64 s[0:1], s[2:3], exec
	global_store_dwordx2 v[91:92], v[72:73], off
	s_cbranch_execz .LBB0_15
	s_branch .LBB0_18
.LBB0_14:
	s_mov_b64 s[0:1], 0
                                        ; implicit-def: $vgpr60_vgpr61
.LBB0_15:
	v_cmp_gt_u64_e32 vcc, s[16:17], v[37:38]
                                        ; implicit-def: $vgpr60_vgpr61
	s_and_saveexec_b64 s[4:5], vcc
	s_cbranch_execz .LBB0_17
; %bb.16:
	v_mad_u64_u32 v[37:38], s[10:11], s8, v89, 0
	s_movk_i32 s8, 0x23f
	v_mov_b32_e32 v60, 0xe0
	v_cmp_lt_u32_e32 vcc, s8, v0
	v_cndmask_b32_e32 v0, 0, v60, vcc
	v_or_b32_e32 v95, v88, v0
	v_mad_u64_u32 v[91:92], s[10:11], s12, v95, 0
	v_mov_b32_e32 v0, v38
	v_mad_u64_u32 v[60:61], s[8:9], s9, v89, v[0:1]
	v_mov_b32_e32 v0, v92
	v_mad_u64_u32 v[92:93], s[8:9], s13, v95, v[0:1]
	s_lshl_b64 s[6:7], s[6:7], 3
	v_mov_b32_e32 v38, v60
	s_add_u32 s8, s14, s6
	s_addc_u32 s6, s15, s7
	v_lshlrev_b64 v[37:38], 3, v[37:38]
	v_add_u32_e32 v89, 32, v95
	v_mov_b32_e32 v0, s6
	v_mad_u64_u32 v[93:94], s[6:7], s12, v89, 0
	v_add_co_u32_e32 v60, vcc, s8, v37
	v_addc_co_u32_e32 v61, vcc, v0, v38, vcc
	v_lshlrev_b64 v[37:38], 3, v[91:92]
	v_mov_b32_e32 v0, v94
	v_add_co_u32_e32 v37, vcc, v60, v37
	v_mad_u64_u32 v[91:92], s[6:7], s13, v89, v[0:1]
	v_addc_co_u32_e32 v38, vcc, v61, v38, vcc
	v_add_u32_e32 v89, 64, v95
	global_store_dwordx2 v[37:38], v[58:59], off
	v_mad_u64_u32 v[58:59], s[6:7], s12, v89, 0
	v_mov_b32_e32 v94, v91
	v_lshlrev_b64 v[37:38], 3, v[93:94]
	v_mov_b32_e32 v0, v59
	v_mad_u64_u32 v[91:92], s[6:7], s13, v89, v[0:1]
	v_add_u32_e32 v89, 0x60, v95
	v_mad_u64_u32 v[92:93], s[6:7], s12, v89, 0
	v_add_co_u32_e32 v37, vcc, v60, v37
	v_addc_co_u32_e32 v38, vcc, v61, v38, vcc
	v_mov_b32_e32 v59, v91
	v_mov_b32_e32 v0, v93
	global_store_dwordx2 v[37:38], v[64:65], off
	v_lshlrev_b64 v[37:38], 3, v[58:59]
	v_mad_u64_u32 v[58:59], s[6:7], s13, v89, v[0:1]
	v_add_u32_e32 v64, 0x80, v95
	v_add_co_u32_e32 v37, vcc, v60, v37
	v_mov_b32_e32 v93, v58
	v_mad_u64_u32 v[58:59], s[6:7], s12, v64, 0
	v_addc_co_u32_e32 v38, vcc, v61, v38, vcc
	v_mov_b32_e32 v0, v59
	global_store_dwordx2 v[37:38], v[66:67], off
	v_mad_u64_u32 v[64:65], s[6:7], s13, v64, v[0:1]
	v_add_u32_e32 v67, 0xa0, v95
	v_mad_u64_u32 v[65:66], s[6:7], s12, v67, 0
	v_lshlrev_b64 v[37:38], 3, v[92:93]
	v_mov_b32_e32 v59, v64
	v_add_co_u32_e32 v37, vcc, v60, v37
	v_addc_co_u32_e32 v38, vcc, v61, v38, vcc
	v_mov_b32_e32 v0, v66
	global_store_dwordx2 v[37:38], v[62:63], off
	v_lshlrev_b64 v[37:38], 3, v[58:59]
	v_mad_u64_u32 v[58:59], s[6:7], s13, v67, v[0:1]
	v_add_u32_e32 v64, 0xc0, v95
	v_add_co_u32_e32 v37, vcc, v60, v37
	v_mov_b32_e32 v66, v58
	v_mad_u64_u32 v[58:59], s[6:7], s12, v64, 0
	s_movk_i32 s6, 0xc0
	v_addc_co_u32_e32 v38, vcc, v61, v38, vcc
	v_mov_b32_e32 v0, v59
	v_lshrrev_b32_e32 v59, 5, v39
	v_mad_u64_u32 v[62:63], s[6:7], v59, s6, v[39:40]
	v_mad_u64_u32 v[63:64], s[6:7], s13, v64, v[0:1]
	global_store_dwordx2 v[37:38], v[68:69], off
	v_lshlrev_b64 v[37:38], 3, v[65:66]
	v_mad_u64_u32 v[64:65], s[6:7], s12, v62, 0
	v_add_co_u32_e32 v37, vcc, v60, v37
	v_addc_co_u32_e32 v38, vcc, v61, v38, vcc
	v_mov_b32_e32 v59, v63
	v_mov_b32_e32 v0, v65
	global_store_dwordx2 v[37:38], v[70:71], off
	v_lshlrev_b64 v[37:38], 3, v[58:59]
	v_mad_u64_u32 v[58:59], s[6:7], s13, v62, v[0:1]
	v_add_u32_e32 v39, 32, v62
	v_add_co_u32_e32 v37, vcc, v60, v37
	v_mov_b32_e32 v65, v58
	v_mad_u64_u32 v[58:59], s[6:7], s12, v39, 0
	v_addc_co_u32_e32 v38, vcc, v61, v38, vcc
	v_mov_b32_e32 v0, v59
	global_store_dwordx2 v[37:38], v[86:87], off
	v_lshlrev_b64 v[37:38], 3, v[64:65]
	v_mad_u64_u32 v[63:64], s[6:7], s13, v39, v[0:1]
	v_add_u32_e32 v39, 64, v62
	v_mad_u64_u32 v[64:65], s[6:7], s12, v39, 0
	v_add_co_u32_e32 v37, vcc, v60, v37
	v_addc_co_u32_e32 v38, vcc, v61, v38, vcc
	v_mov_b32_e32 v59, v63
	v_mov_b32_e32 v0, v65
	global_store_dwordx2 v[37:38], v[82:83], off
	v_lshlrev_b64 v[37:38], 3, v[58:59]
	v_mad_u64_u32 v[58:59], s[6:7], s13, v39, v[0:1]
	v_add_u32_e32 v39, 0x60, v62
	v_add_co_u32_e32 v37, vcc, v60, v37
	v_mov_b32_e32 v65, v58
	v_mad_u64_u32 v[58:59], s[6:7], s12, v39, 0
	v_addc_co_u32_e32 v38, vcc, v61, v38, vcc
	v_mov_b32_e32 v0, v59
	global_store_dwordx2 v[37:38], v[84:85], off
	v_lshlrev_b64 v[37:38], 3, v[64:65]
	v_mad_u64_u32 v[63:64], s[6:7], s13, v39, v[0:1]
	v_add_u32_e32 v39, 0x80, v62
	;; [unrolled: 18-line block ×3, first 2 shown]
	v_mad_u64_u32 v[64:65], s[6:7], s12, v39, 0
	v_add_co_u32_e32 v37, vcc, v60, v37
	v_addc_co_u32_e32 v38, vcc, v61, v38, vcc
	v_mov_b32_e32 v59, v63
	v_mov_b32_e32 v0, v65
	global_store_dwordx2 v[37:38], v[74:75], off
	v_lshlrev_b64 v[37:38], 3, v[58:59]
	v_mad_u64_u32 v[58:59], s[6:7], s13, v39, v[0:1]
	v_add_co_u32_e32 v37, vcc, v60, v37
	v_addc_co_u32_e32 v38, vcc, v61, v38, vcc
	v_mov_b32_e32 v65, v58
	global_store_dwordx2 v[37:38], v[76:77], off
	v_lshlrev_b64 v[37:38], 3, v[64:65]
	s_andn2_b64 s[0:1], s[0:1], exec
	v_add_co_u32_e32 v37, vcc, v60, v37
	s_and_b64 s[2:3], s[2:3], exec
	v_addc_co_u32_e32 v38, vcc, v61, v38, vcc
	s_or_b64 s[0:1], s[0:1], s[2:3]
	global_store_dwordx2 v[37:38], v[72:73], off
.LBB0_17:
	s_or_b64 exec, exec, s[4:5]
.LBB0_18:
	s_and_saveexec_b64 s[2:3], s[0:1]
	s_cbranch_execnz .LBB0_20
; %bb.19:
	s_endpgm
.LBB0_20:
	s_waitcnt vmcnt(0)
	v_mul_f32_e32 v0, v2, v22
	v_fmac_f32_e32 v0, v1, v21
	v_mul_f32_e32 v1, v1, v22
	v_fma_f32 v1, v2, v21, -v1
	v_mul_f32_e32 v2, v4, v24
	v_fmac_f32_e32 v2, v3, v23
	v_mul_f32_e32 v3, v3, v24
	v_fma_f32 v3, v4, v23, -v3
	;; [unrolled: 4-line block ×6, first 2 shown]
	v_add_f32_e32 v8, v0, v6
	v_sub_f32_e32 v0, v0, v6
	v_add_f32_e32 v6, v2, v12
	v_add_f32_e32 v13, v1, v7
	v_sub_f32_e32 v1, v1, v7
	v_add_f32_e32 v7, v3, v5
	v_sub_f32_e32 v3, v3, v5
	;; [unrolled: 2-line block ×6, first 2 shown]
	v_sub_f32_e32 v8, v8, v5
	v_sub_f32_e32 v6, v5, v6
	v_add_f32_e32 v5, v5, v10
	v_add_f32_e32 v10, v12, v11
	;; [unrolled: 1-line block ×3, first 2 shown]
	v_sub_f32_e32 v15, v7, v13
	v_sub_f32_e32 v13, v13, v12
	;; [unrolled: 1-line block ×3, first 2 shown]
	v_add_f32_e32 v16, v4, v2
	v_add_f32_e32 v17, v9, v3
	;; [unrolled: 1-line block ×3, first 2 shown]
	v_mov_b32_e32 v22, v11
	v_sub_f32_e32 v18, v4, v2
	v_sub_f32_e32 v19, v9, v3
	;; [unrolled: 1-line block ×6, first 2 shown]
	v_add_f32_e32 v0, v16, v0
	v_add_f32_e32 v1, v17, v1
	v_mul_f32_e32 v16, 0x3d64c772, v6
	v_mul_f32_e32 v17, 0x3d64c772, v7
	v_fmac_f32_e32 v22, 0xbf955555, v5
	v_mov_b32_e32 v5, v12
	s_mov_b32 s1, 0x3f3bfb3b
	v_mul_f32_e32 v8, 0x3f4a47b2, v8
	v_mul_f32_e32 v13, 0x3f4a47b2, v13
	;; [unrolled: 1-line block ×4, first 2 shown]
	s_mov_b32 s0, 0xbf5ff5aa
	v_fmac_f32_e32 v5, 0xbf955555, v10
	v_fma_f32 v10, v14, s1, -v16
	v_fma_f32 v16, v15, s1, -v17
	s_mov_b32 s1, 0xbf3bfb3b
	v_mul_f32_e32 v20, 0xbf5ff5aa, v2
	v_mul_f32_e32 v21, 0xbf5ff5aa, v3
	v_fma_f32 v14, v14, s1, -v8
	v_fmac_f32_e32 v8, 0x3d64c772, v6
	v_fma_f32 v6, v15, s1, -v13
	v_fmac_f32_e32 v13, 0x3d64c772, v7
	v_fma_f32 v2, v2, s0, -v18
	v_fma_f32 v3, v3, s0, -v19
	s_mov_b32 s0, 0x3eae86e6
	v_fmac_f32_e32 v19, 0xbeae86e6, v9
	v_fma_f32 v7, v9, s0, -v21
	v_add_f32_e32 v9, v13, v5
	v_add_f32_e32 v13, v16, v5
	v_fmac_f32_e32 v2, 0xbee1c552, v0
	v_fmac_f32_e32 v18, 0xbeae86e6, v4
	v_fma_f32 v4, v4, s0, -v20
	v_add_f32_e32 v21, v2, v13
	v_sub_f32_e32 v13, v13, v2
	v_mul_f32_e32 v2, v50, v53
	v_add_f32_e32 v5, v6, v5
	v_fmac_f32_e32 v18, 0xbee1c552, v0
	v_fmac_f32_e32 v4, 0xbee1c552, v0
	v_mul_f32_e32 v0, v51, v53
	v_fmac_f32_e32 v2, v51, v52
	v_add_f32_e32 v8, v8, v22
	v_add_f32_e32 v10, v10, v22
	;; [unrolled: 1-line block ×3, first 2 shown]
	v_fmac_f32_e32 v19, 0xbee1c552, v1
	v_fmac_f32_e32 v3, 0xbee1c552, v1
	;; [unrolled: 1-line block ×3, first 2 shown]
	v_sub_f32_e32 v17, v5, v4
	v_add_f32_e32 v22, v4, v5
	v_fma_f32 v1, v50, v52, -v0
	v_mul_f32_e32 v0, v12, v2
	v_mul_f32_e32 v2, v11, v2
	v_mul_f32_e32 v4, v33, v36
	v_sub_f32_e32 v15, v9, v18
	v_fmac_f32_e32 v0, v11, v1
	v_fma_f32 v1, v12, v1, -v2
	v_mul_f32_e32 v2, v34, v36
	v_fmac_f32_e32 v4, v34, v35
	v_add_f32_e32 v6, v19, v8
	v_sub_f32_e32 v20, v10, v3
	v_add_f32_e32 v10, v3, v10
	v_fma_f32 v3, v33, v35, -v2
	v_mul_f32_e32 v2, v15, v4
	v_fmac_f32_e32 v2, v6, v3
	v_mul_f32_e32 v4, v6, v4
	v_mul_f32_e32 v6, v42, v45
	v_add_f32_e32 v16, v7, v14
	v_fma_f32 v3, v15, v3, -v4
	v_mul_f32_e32 v4, v43, v45
	v_fmac_f32_e32 v6, v43, v44
	v_sub_f32_e32 v19, v8, v19
	v_fma_f32 v5, v42, v44, -v4
	v_mul_f32_e32 v4, v17, v6
	v_mul_f32_e32 v6, v16, v6
	;; [unrolled: 1-line block ×3, first 2 shown]
	v_fmac_f32_e32 v4, v16, v5
	v_fma_f32 v5, v17, v5, -v6
	v_mul_f32_e32 v6, v30, v32
	v_fmac_f32_e32 v8, v30, v31
	v_sub_f32_e32 v14, v14, v7
	v_fma_f32 v7, v29, v31, -v6
	v_mul_f32_e32 v6, v21, v8
	v_mul_f32_e32 v8, v20, v8
	;; [unrolled: 1-line block ×3, first 2 shown]
	v_fmac_f32_e32 v6, v20, v7
	v_fma_f32 v7, v21, v7, -v8
	v_mul_f32_e32 v8, v55, v57
	v_fmac_f32_e32 v11, v55, v56
	v_add_f32_e32 v18, v18, v9
	v_fma_f32 v9, v54, v56, -v8
	v_mul_f32_e32 v8, v13, v11
	v_fmac_f32_e32 v8, v10, v9
	v_mul_f32_e32 v10, v10, v11
	v_mul_f32_e32 v12, v46, v49
	v_fma_f32 v9, v13, v9, -v10
	v_mul_f32_e32 v10, v47, v49
	v_fmac_f32_e32 v12, v47, v48
	v_fma_f32 v11, v46, v48, -v10
	v_mul_f32_e32 v10, v22, v12
	v_mul_f32_e32 v12, v14, v12
	v_fmac_f32_e32 v10, v14, v11
	v_fma_f32 v11, v22, v11, -v12
	v_mul_f32_e32 v12, v26, v28
	v_fma_f32 v15, v25, v27, -v12
	v_mad_u64_u32 v[12:13], s[0:1], s12, v90, 0
	v_mul_f32_e32 v20, v25, v28
	v_fmac_f32_e32 v20, v26, v27
	v_mul_f32_e32 v14, v18, v20
	v_mad_u64_u32 v[16:17], s[0:1], s13, v90, v[13:14]
	v_mul_f32_e32 v13, v19, v20
	v_fmac_f32_e32 v14, v19, v15
	v_fma_f32 v15, v18, v15, -v13
	v_add_u32_e32 v18, 60, v88
	v_mov_b32_e32 v13, v16
	v_mad_u64_u32 v[16:17], s[0:1], s12, v18, 0
	v_add_u32_e32 v20, 0x5c, v88
	v_lshlrev_b64 v[12:13], 3, v[12:13]
	v_mad_u64_u32 v[17:18], s[0:1], s13, v18, v[17:18]
	v_mad_u64_u32 v[18:19], s[0:1], s12, v20, 0
	v_add_co_u32_e32 v12, vcc, v60, v12
	v_addc_co_u32_e32 v13, vcc, v61, v13, vcc
	global_store_dwordx2 v[12:13], v[0:1], off
	v_mov_b32_e32 v12, v19
	v_mad_u64_u32 v[12:13], s[0:1], s13, v20, v[12:13]
	v_lshlrev_b64 v[0:1], 3, v[16:17]
	v_add_co_u32_e32 v0, vcc, v60, v0
	v_addc_co_u32_e32 v1, vcc, v61, v1, vcc
	v_mov_b32_e32 v19, v12
	v_add_u32_e32 v12, 0x7c, v88
	global_store_dwordx2 v[0:1], v[2:3], off
	v_mad_u64_u32 v[2:3], s[0:1], s12, v12, 0
	v_lshlrev_b64 v[0:1], 3, v[18:19]
	v_mad_u64_u32 v[12:13], s[0:1], s13, v12, v[3:4]
	v_add_u32_e32 v13, 0x9c, v88
	v_mad_u64_u32 v[16:17], s[0:1], s12, v13, 0
	v_add_co_u32_e32 v0, vcc, v60, v0
	v_addc_co_u32_e32 v1, vcc, v61, v1, vcc
	v_mov_b32_e32 v3, v12
	global_store_dwordx2 v[0:1], v[4:5], off
	v_lshlrev_b64 v[0:1], 3, v[2:3]
	v_mov_b32_e32 v2, v17
	v_mad_u64_u32 v[2:3], s[0:1], s13, v13, v[2:3]
	v_add_u32_e32 v4, 0xbc, v88
	v_add_co_u32_e32 v0, vcc, v60, v0
	v_mov_b32_e32 v17, v2
	v_mad_u64_u32 v[2:3], s[0:1], s12, v4, 0
	v_addc_co_u32_e32 v1, vcc, v61, v1, vcc
	global_store_dwordx2 v[0:1], v[6:7], off
	v_mad_u64_u32 v[3:4], s[0:1], s13, v4, v[3:4]
	v_add_u32_e32 v6, 0xdc, v88
	v_lshlrev_b64 v[0:1], 3, v[16:17]
	v_mad_u64_u32 v[4:5], s[0:1], s12, v6, 0
	v_add_co_u32_e32 v0, vcc, v60, v0
	v_addc_co_u32_e32 v1, vcc, v61, v1, vcc
	global_store_dwordx2 v[0:1], v[8:9], off
	v_lshlrev_b64 v[0:1], 3, v[2:3]
	v_mov_b32_e32 v2, v5
	v_mad_u64_u32 v[2:3], s[0:1], s13, v6, v[2:3]
	v_add_co_u32_e32 v0, vcc, v60, v0
	v_addc_co_u32_e32 v1, vcc, v61, v1, vcc
	v_mov_b32_e32 v5, v2
	global_store_dwordx2 v[0:1], v[10:11], off
	v_lshlrev_b64 v[0:1], 3, v[4:5]
	v_add_co_u32_e32 v0, vcc, v60, v0
	v_addc_co_u32_e32 v1, vcc, v61, v1, vcc
	global_store_dwordx2 v[0:1], v[14:15], off
	s_endpgm
	.section	.rodata,"a",@progbits
	.p2align	6, 0x0
	.amdhsa_kernel fft_rtc_back_len224_factors_2_4_4_7_wgs_252_tpt_14_dim2_sp_ip_CI_sbcc_twdbase8_2step_dirReg
		.amdhsa_group_segment_fixed_size 0
		.amdhsa_private_segment_fixed_size 0
		.amdhsa_kernarg_size 88
		.amdhsa_user_sgpr_count 6
		.amdhsa_user_sgpr_private_segment_buffer 1
		.amdhsa_user_sgpr_dispatch_ptr 0
		.amdhsa_user_sgpr_queue_ptr 0
		.amdhsa_user_sgpr_kernarg_segment_ptr 1
		.amdhsa_user_sgpr_dispatch_id 0
		.amdhsa_user_sgpr_flat_scratch_init 0
		.amdhsa_user_sgpr_private_segment_size 0
		.amdhsa_uses_dynamic_stack 0
		.amdhsa_system_sgpr_private_segment_wavefront_offset 0
		.amdhsa_system_sgpr_workgroup_id_x 1
		.amdhsa_system_sgpr_workgroup_id_y 0
		.amdhsa_system_sgpr_workgroup_id_z 0
		.amdhsa_system_sgpr_workgroup_info 0
		.amdhsa_system_vgpr_workitem_id 0
		.amdhsa_next_free_vgpr 127
		.amdhsa_next_free_sgpr 24
		.amdhsa_reserve_vcc 1
		.amdhsa_reserve_flat_scratch 0
		.amdhsa_float_round_mode_32 0
		.amdhsa_float_round_mode_16_64 0
		.amdhsa_float_denorm_mode_32 3
		.amdhsa_float_denorm_mode_16_64 3
		.amdhsa_dx10_clamp 1
		.amdhsa_ieee_mode 1
		.amdhsa_fp16_overflow 0
		.amdhsa_exception_fp_ieee_invalid_op 0
		.amdhsa_exception_fp_denorm_src 0
		.amdhsa_exception_fp_ieee_div_zero 0
		.amdhsa_exception_fp_ieee_overflow 0
		.amdhsa_exception_fp_ieee_underflow 0
		.amdhsa_exception_fp_ieee_inexact 0
		.amdhsa_exception_int_div_zero 0
	.end_amdhsa_kernel
	.text
.Lfunc_end0:
	.size	fft_rtc_back_len224_factors_2_4_4_7_wgs_252_tpt_14_dim2_sp_ip_CI_sbcc_twdbase8_2step_dirReg, .Lfunc_end0-fft_rtc_back_len224_factors_2_4_4_7_wgs_252_tpt_14_dim2_sp_ip_CI_sbcc_twdbase8_2step_dirReg
                                        ; -- End function
	.section	.AMDGPU.csdata,"",@progbits
; Kernel info:
; codeLenInByte = 11096
; NumSgprs: 28
; NumVgprs: 127
; ScratchSize: 0
; MemoryBound: 0
; FloatMode: 240
; IeeeMode: 1
; LDSByteSize: 0 bytes/workgroup (compile time only)
; SGPRBlocks: 3
; VGPRBlocks: 31
; NumSGPRsForWavesPerEU: 28
; NumVGPRsForWavesPerEU: 127
; Occupancy: 2
; WaveLimiterHint : 1
; COMPUTE_PGM_RSRC2:SCRATCH_EN: 0
; COMPUTE_PGM_RSRC2:USER_SGPR: 6
; COMPUTE_PGM_RSRC2:TRAP_HANDLER: 0
; COMPUTE_PGM_RSRC2:TGID_X_EN: 1
; COMPUTE_PGM_RSRC2:TGID_Y_EN: 0
; COMPUTE_PGM_RSRC2:TGID_Z_EN: 0
; COMPUTE_PGM_RSRC2:TIDIG_COMP_CNT: 0
	.type	__hip_cuid_615f8fec025990a9,@object ; @__hip_cuid_615f8fec025990a9
	.section	.bss,"aw",@nobits
	.globl	__hip_cuid_615f8fec025990a9
__hip_cuid_615f8fec025990a9:
	.byte	0                               ; 0x0
	.size	__hip_cuid_615f8fec025990a9, 1

	.ident	"AMD clang version 19.0.0git (https://github.com/RadeonOpenCompute/llvm-project roc-6.4.0 25133 c7fe45cf4b819c5991fe208aaa96edf142730f1d)"
	.section	".note.GNU-stack","",@progbits
	.addrsig
	.addrsig_sym __hip_cuid_615f8fec025990a9
	.amdgpu_metadata
---
amdhsa.kernels:
  - .args:
      - .actual_access:  read_only
        .address_space:  global
        .offset:         0
        .size:           8
        .value_kind:     global_buffer
      - .address_space:  global
        .offset:         8
        .size:           8
        .value_kind:     global_buffer
      - .actual_access:  read_only
        .address_space:  global
        .offset:         16
        .size:           8
        .value_kind:     global_buffer
      - .actual_access:  read_only
        .address_space:  global
        .offset:         24
        .size:           8
        .value_kind:     global_buffer
      - .offset:         32
        .size:           8
        .value_kind:     by_value
      - .actual_access:  read_only
        .address_space:  global
        .offset:         40
        .size:           8
        .value_kind:     global_buffer
      - .actual_access:  read_only
        .address_space:  global
        .offset:         48
        .size:           8
        .value_kind:     global_buffer
      - .offset:         56
        .size:           4
        .value_kind:     by_value
      - .actual_access:  read_only
        .address_space:  global
        .offset:         64
        .size:           8
        .value_kind:     global_buffer
      - .actual_access:  read_only
        .address_space:  global
        .offset:         72
        .size:           8
        .value_kind:     global_buffer
      - .address_space:  global
        .offset:         80
        .size:           8
        .value_kind:     global_buffer
    .group_segment_fixed_size: 0
    .kernarg_segment_align: 8
    .kernarg_segment_size: 88
    .language:       OpenCL C
    .language_version:
      - 2
      - 0
    .max_flat_workgroup_size: 252
    .name:           fft_rtc_back_len224_factors_2_4_4_7_wgs_252_tpt_14_dim2_sp_ip_CI_sbcc_twdbase8_2step_dirReg
    .private_segment_fixed_size: 0
    .sgpr_count:     28
    .sgpr_spill_count: 0
    .symbol:         fft_rtc_back_len224_factors_2_4_4_7_wgs_252_tpt_14_dim2_sp_ip_CI_sbcc_twdbase8_2step_dirReg.kd
    .uniform_work_group_size: 1
    .uses_dynamic_stack: false
    .vgpr_count:     127
    .vgpr_spill_count: 0
    .wavefront_size: 64
amdhsa.target:   amdgcn-amd-amdhsa--gfx906
amdhsa.version:
  - 1
  - 2
...

	.end_amdgpu_metadata
